;; amdgpu-corpus repo=ROCm/aiter kind=harvested arch=n/a opt=n/a

/root/src/amdgpu-assembly/repos/ROCm__aiter/hsa/gfx950/f4gemm/f4gemm_bf16_per1x32Fp4_BpreShuffle_96x384.co:	file format elf64-amdgpu

Disassembly of section .text:

0000000000002c00 <_ZN5aiter41f4gemm_bf16_per1x32Fp4_BpreShuffle_96x384E>:
	s_and_b32 s1, s1, 0xffff                                   // 000000002C00: 8601FF01 0000FFFF
	s_load_dwordx2 s[4:5], s[0:1], 0x0                         // 000000002C08: C0060100 00000000
	s_load_dwordx2 s[8:9], s[0:1], 0x10                        // 000000002C10: C0060200 00000010
	s_load_dwordx2 s[12:13], s[0:1], 0x20                      // 000000002C18: C0060300 00000020
	s_load_dwordx2 s[16:17], s[0:1], 0x30                      // 000000002C20: C0060400 00000030
	s_load_dword s41, s[0:1], 0x40                             // 000000002C28: C0020A40 00000040
	s_load_dword s42, s[0:1], 0x50                             // 000000002C30: C0020A80 00000050
	s_load_dword s36, s[0:1], 0x80                             // 000000002C38: C0020900 00000080
	s_load_dword s37, s[0:1], 0xa0                             // 000000002C40: C0020940 000000A0
	s_load_dword s38, s[0:1], 0xc0                             // 000000002C48: C0020980 000000C0
	s_load_dword s43, s[0:1], 0xe0                             // 000000002C50: C0020AC0 000000E0
	s_load_dword s44, s[0:1], 0xf0                             // 000000002C58: C0020B00 000000F0
	s_load_dword s45, s[0:1], 0x100                            // 000000002C60: C0020B40 00000100
	s_load_dwordx2 s[20:21], s[0:1], 0x110                     // 000000002C68: C0060500 00000110
	s_load_dwordx2 s[24:25], s[0:1], 0x120                     // 000000002C70: C0060600 00000120
	s_load_dword s39, s[0:1], 0x130                            // 000000002C78: C00209C0 00000130
	s_load_dword s40, s[0:1], 0x150                            // 000000002C80: C0020A00 00000150
	v_lshrrev_b32_e32 v1, 10, v0                               // 000000002C88: 2002008A
	v_lshrrev_b32_e32 v2, 10, v1                               // 000000002C8C: 2004028A
	v_and_b32_e32 v2, 0x3ff, v2                                // 000000002C90: 260404FF 000003FF
	v_and_b32_e32 v1, 0x3ff, v1                                // 000000002C98: 260202FF 000003FF
	v_and_b32_e32 v0, 0x3ff, v0                                // 000000002CA0: 260000FF 000003FF
	v_lshrrev_b32_e32 v3, 6, v0                                // 000000002CA8: 20060086
	v_and_b32_e32 v0, 63, v0                                   // 000000002CAC: 260000BF
	s_mov_b32 s47, s2                                          // 000000002CB0: BEAF0002
	s_mov_b32 s48, s3                                          // 000000002CB4: BEB00003
	v_readfirstlane_b32 s46, v3                                // 000000002CB8: 7E5C0503
	s_waitcnt lgkmcnt(0)                                       // 000000002CBC: BF8CC07F
	s_add_u32 s51, s44, 0x17f                                  // 000000002CC0: 8033FF2C 0000017F
	s_mov_b32 s63, 0x180                                       // 000000002CC8: BEBF00FF 00000180
	v_cvt_f32_u32_e32 v4, s63                                  // 000000002CD0: 7E080C3F
	s_sub_i32 s50, 0, s63                                      // 000000002CD4: 81B23F80
	v_rcp_iflag_f32_e32 v4, v4                                 // 000000002CD8: 7E084704
	s_nop 0                                                    // 000000002CDC: BF800000
	v_mul_f32_e32 v4, 0x4f7ffffe, v4                           // 000000002CE0: 0A0808FF 4F7FFFFE
	v_cvt_u32_f32_e32 v4, v4                                   // 000000002CE8: 7E080F04
	v_mul_lo_u32 v5, s50, v4                                   // 000000002CEC: D2850005 00020832
	v_mul_hi_u32 v5, v4, v5                                    // 000000002CF4: D2860005 00020B04
	v_add_u32_e32 v4, v4, v5                                   // 000000002CFC: 68080B04
	v_mul_hi_u32 v4, s51, v4                                   // 000000002D00: D2860004 00020833
	v_mul_lo_u32 v5, v4, s63                                   // 000000002D08: D2850005 00007F04
	v_sub_u32_e32 v7, s51, v5                                  // 000000002D10: 6A0E0A33
	v_add_u32_e32 v6, 1, v4                                    // 000000002D14: 680C0881
	v_cmp_le_u32_e32 vcc, s63, v7                              // 000000002D18: 7D960E3F
	v_subrev_u32_e32 v5, s63, v7                               // 000000002D1C: 6C0A0E3F
	s_nop 0                                                    // 000000002D20: BF800000
	v_cndmask_b32_e32 v4, v4, v6, vcc                          // 000000002D24: 00080D04
	v_cndmask_b32_e32 v7, v7, v5, vcc                          // 000000002D28: 000E0B07
	v_add_u32_e32 v5, 1, v4                                    // 000000002D2C: 680A0881
	v_cmp_le_u32_e32 vcc, s63, v7                              // 000000002D30: 7D960E3F
	s_nop 1                                                    // 000000002D34: BF800001
	v_cndmask_b32_e32 v7, v4, v5, vcc                          // 000000002D38: 000E0B04
	s_nop 3                                                    // 000000002D3C: BF800003
	v_readfirstlane_b32 s50, v7                                // 000000002D40: 7E640507
	s_nop 3                                                    // 000000002D44: BF800003
	s_mul_i32 s49, s50, s48                                    // 000000002D48: 92313032
	s_add_i32 s49, s49, s47                                    // 000000002D4C: 81312F31
	s_add_u32 s51, s43, 0x5f                                   // 000000002D50: 8033FF2B 0000005F
	s_mov_b32 s63, 0x60                                        // 000000002D58: BEBF00FF 00000060
	v_cvt_f32_u32_e32 v4, s63                                  // 000000002D60: 7E080C3F
	s_sub_i32 s62, 0, s63                                      // 000000002D64: 81BE3F80
	v_rcp_iflag_f32_e32 v4, v4                                 // 000000002D68: 7E084704
	s_nop 0                                                    // 000000002D6C: BF800000
	v_mul_f32_e32 v4, 0x4f7ffffe, v4                           // 000000002D70: 0A0808FF 4F7FFFFE
	v_cvt_u32_f32_e32 v4, v4                                   // 000000002D78: 7E080F04
	v_mul_lo_u32 v5, s62, v4                                   // 000000002D7C: D2850005 0002083E
	v_mul_hi_u32 v5, v4, v5                                    // 000000002D84: D2860005 00020B04
	v_add_u32_e32 v4, v4, v5                                   // 000000002D8C: 68080B04
	v_mul_hi_u32 v4, s51, v4                                   // 000000002D90: D2860004 00020833
	v_mul_lo_u32 v5, v4, s63                                   // 000000002D98: D2850005 00007F04
	v_sub_u32_e32 v7, s51, v5                                  // 000000002DA0: 6A0E0A33
	v_add_u32_e32 v6, 1, v4                                    // 000000002DA4: 680C0881
	v_cmp_le_u32_e32 vcc, s63, v7                              // 000000002DA8: 7D960E3F
	v_subrev_u32_e32 v5, s63, v7                               // 000000002DAC: 6C0A0E3F
	s_nop 0                                                    // 000000002DB0: BF800000
	v_cndmask_b32_e32 v4, v4, v6, vcc                          // 000000002DB4: 00080D04
	v_cndmask_b32_e32 v7, v7, v5, vcc                          // 000000002DB8: 000E0B07
	v_add_u32_e32 v5, 1, v4                                    // 000000002DBC: 680A0881
	v_cmp_le_u32_e32 vcc, s63, v7                              // 000000002DC0: 7D960E3F
	s_nop 1                                                    // 000000002DC4: BF800001
	v_cndmask_b32_e32 v7, v4, v5, vcc                          // 000000002DC8: 000E0B04
	s_nop 3                                                    // 000000002DCC: BF800003
	v_readfirstlane_b32 s62, v7                                // 000000002DD0: 7E7C0507
	s_nop 3                                                    // 000000002DD4: BF800003
	s_lshl_b32 s62, s62, 5                                     // 000000002DD8: 8E3E853E
	s_mov_b32 s47, 0                                           // 000000002DDC: BEAF0080

0000000000002de0 <label_0078>:
	s_cmp_lt_i32 s49, s62                                      // 000000002DE0: BF043E31
	s_cbranch_scc1 label_007D                                  // 000000002DE4: BF850003
	s_sub_i32 s49, s49, s62                                    // 000000002DE8: 81B13E31
	s_add_i32 s47, s47, 32                                     // 000000002DEC: 812FA02F
	s_branch label_0078                                        // 000000002DF0: BF82FFFB

0000000000002df4 <label_007D>:
	s_sub_i32 s50, s50, s47                                    // 000000002DF4: 81B22F32
	s_cmp_lt_i32 s50, 32                                       // 000000002DF8: BF04A032
	s_cbranch_scc1 label_0083                                  // 000000002DFC: BF850003
	s_lshr_b32 s48, s49, 5                                     // 000000002E00: 8F308531
	s_and_b32 s62, s49, 31                                     // 000000002E04: 863E9F31
	s_branch label_00A3                                        // 000000002E08: BF820020

0000000000002e0c <label_0083>:
	v_cvt_f32_u32_e32 v4, s50                                  // 000000002E0C: 7E080C32
	s_sub_i32 s48, 0, s50                                      // 000000002E10: 81B03280
	v_rcp_iflag_f32_e32 v4, v4                                 // 000000002E14: 7E084704
	s_nop 0                                                    // 000000002E18: BF800000
	v_mul_f32_e32 v4, 0x4f7ffffe, v4                           // 000000002E1C: 0A0808FF 4F7FFFFE
	v_cvt_u32_f32_e32 v4, v4                                   // 000000002E24: 7E080F04
	v_mul_lo_u32 v5, s48, v4                                   // 000000002E28: D2850005 00020830
	v_mul_hi_u32 v5, v4, v5                                    // 000000002E30: D2860005 00020B04
	v_add_u32_e32 v4, v4, v5                                   // 000000002E38: 68080B04
	v_mul_hi_u32 v4, s49, v4                                   // 000000002E3C: D2860004 00020831
	v_mul_lo_u32 v5, v4, s50                                   // 000000002E44: D2850005 00006504
	v_sub_u32_e32 v7, s49, v5                                  // 000000002E4C: 6A0E0A31
	v_add_u32_e32 v6, 1, v4                                    // 000000002E50: 680C0881
	v_cmp_le_u32_e32 vcc, s50, v7                              // 000000002E54: 7D960E32
	v_subrev_u32_e32 v5, s50, v7                               // 000000002E58: 6C0A0E32
	s_nop 0                                                    // 000000002E5C: BF800000
	v_cndmask_b32_e32 v4, v4, v6, vcc                          // 000000002E60: 00080D04
	v_cndmask_b32_e32 v7, v7, v5, vcc                          // 000000002E64: 000E0B07
	v_add_u32_e32 v5, 1, v4                                    // 000000002E68: 680A0881
	v_cmp_le_u32_e32 vcc, s50, v7                              // 000000002E6C: 7D960E32
	s_nop 1                                                    // 000000002E70: BF800001
	v_cndmask_b32_e32 v7, v4, v5, vcc                          // 000000002E74: 000E0B04
	s_nop 3                                                    // 000000002E78: BF800003
	v_readfirstlane_b32 s48, v7                                // 000000002E7C: 7E600507
	s_nop 3                                                    // 000000002E80: BF800003
	s_mul_i32 s62, s50, s48                                    // 000000002E84: 923E3032
	s_sub_i32 s62, s49, s62                                    // 000000002E88: 81BE3E31

0000000000002e8c <label_00A3>:
	s_add_i32 s47, s62, s47                                    // 000000002E8C: 812F2F3E
	s_lshr_b32 s37, s37, 1                                     // 000000002E90: 8F258125
	s_mul_i32 s62, s48, 0x60                                   // 000000002E94: 923EFF30 00000060
	s_mul_hi_u32 s63, s37, s62                                 // 000000002E9C: 963F3E25
	s_add_u32 s13, s13, s63                                    // 000000002EA0: 800D3F0D
	s_mul_i32 s63, s37, s62                                    // 000000002EA4: 923F3E25
	s_add_u32 s12, s12, s63                                    // 000000002EA8: 800C3F0C
	s_addc_u32 s13, s13, 0                                     // 000000002EAC: 820D800D
	s_sub_i32 s63, s43, s62                                    // 000000002EB0: 81BF3E2B
	s_cmp_lt_u32 s63, 0x60                                     // 000000002EB4: BF0AFF3F 00000060
	s_cselect_b32 s62, s63, 0x60                               // 000000002EBC: 853EFF3F 00000060
	s_mul_i32 s14, s37, s62                                    // 000000002EC4: 920E3E25
	s_mov_b32 s15, 0x20000                                     // 000000002EC8: BE8F00FF 00020000
	v_lshrrev_b32_e32 v4, 3, v0                                // 000000002ED0: 20080083
	v_lshrrev_b32_e32 v5, 2, v4                                // 000000002ED4: 200A0882
	v_lshlrev_b32_e32 v5, 4, v5                                // 000000002ED8: 240A0A84
	v_and_b32_e32 v4, 3, v4                                    // 000000002EDC: 26080883
	v_lshrrev_b32_e32 v6, 1, v4                                // 000000002EE0: 200C0881
	v_lshlrev_b32_e32 v6, 2, v6                                // 000000002EE4: 240C0C82
	v_add_u32_e32 v5, v5, v6                                   // 000000002EE8: 680A0D05
	v_and_b32_e32 v4, 1, v4                                    // 000000002EEC: 26080881
	v_add_u32_e32 v5, v5, v4                                   // 000000002EF0: 680A0905
	v_mul_lo_u32 v212, s37, v5                                 // 000000002EF4: D28500D4 00020A25
	v_and_b32_e32 v4, 7, v0                                    // 000000002EFC: 26080087
	v_lshlrev_b32_e32 v4, 4, v4                                // 000000002F00: 24080884
	v_add_u32_e32 v212, v4, v212                               // 000000002F04: 69A9A904
	s_lshr_b32 s62, s46, 1                                     // 000000002F08: 8F3E812E
	s_mul_i32 s62, s62, 8                                      // 000000002F0C: 923E883E
	s_and_b32 s63, s46, 1                                      // 000000002F10: 863F812E
	s_mul_i32 s63, s63, 2                                      // 000000002F14: 923F823F
	s_add_u32 s62, s62, s63                                    // 000000002F18: 803E3F3E
	s_mul_i32 s62, s37, s62                                    // 000000002F1C: 923E3E25
	v_add_u32_e32 v212, s62, v212                              // 000000002F20: 69A9A83E
	s_mul_i32 s62, s37, 32                                     // 000000002F24: 923EA025
	v_add_u32_e32 v213, s62, v212                              // 000000002F28: 69ABA83E
	v_add_u32_e32 v214, s62, v213                              // 000000002F2C: 69ADAA3E
	s_mul_i32 s64, 0x420, s46                                  // 000000002F30: 92402EFF 00000420
	s_add_u32 s64, 0x800, s64                                  // 000000002F38: 804040FF 00000800
	v_and_b32_e32 v4, 15, v0                                   // 000000002F40: 2608008F
	v_lshrrev_b32_e32 v5, 3, v4                                // 000000002F44: 200A0883
	v_mul_i32_i24_e32 v5, 2, v5                                // 000000002F48: 0C0A0A82
	v_and_b32_e32 v4, 3, v0                                    // 000000002F4C: 26080083
	v_lshrrev_b32_e32 v6, 1, v4                                // 000000002F50: 200C0881
	v_add_u32_e32 v4, v5, v6                                   // 000000002F54: 68080D05
	v_mul_i32_i24_e32 v215, 0x420, v4                          // 000000002F58: 0DAE08FF 00000420
	v_and_b32_e32 v4, 7, v0                                    // 000000002F60: 26080087
	v_lshrrev_b32_e32 v5, 2, v4                                // 000000002F64: 200A0882
	v_mul_i32_i24_e32 v5, 0x100, v5                            // 000000002F68: 0C0A0AFF 00000100
	v_add_u32_e32 v215, v5, v215                               // 000000002F70: 69AFAF05
	v_and_b32_e32 v4, 1, v0                                    // 000000002F74: 26080081
	v_mul_i32_i24_e32 v6, 0x80, v4                             // 000000002F78: 0C0C08FF 00000080
	v_add_u32_e32 v215, v6, v215                               // 000000002F80: 69AFAF06
	v_lshrrev_b32_e32 v4, 4, v0                                // 000000002F84: 20080084
	v_mul_i32_i24_e32 v4, 16, v4                               // 000000002F88: 0C080890
	v_add_u32_e32 v215, v4, v215                               // 000000002F8C: 69AFAF04
	v_add_u32_e32 v215, 0x800, v215                            // 000000002F90: 69AFAEFF 00000800
	v_add_u32_e32 v216, 0x3180, v215                           // 000000002F98: 69B1AEFF 00003180
	s_mul_i32 s62, s48, 0x60                                   // 000000002FA0: 923EFF30 00000060
	s_mul_hi_u32 s63, s39, s62                                 // 000000002FA8: 963F3E27
	s_add_u32 s21, s21, s63                                    // 000000002FAC: 80153F15
	s_mul_i32 s63, s39, s62                                    // 000000002FB0: 923F3E27
	s_add_u32 s20, s20, s63                                    // 000000002FB4: 80143F14
	s_addc_u32 s21, s21, 0                                     // 000000002FB8: 82158015
	s_add_u32 s63, s43, 31                                     // 000000002FBC: 803F9F2B
	s_lshr_b32 s63, s63, 5                                     // 000000002FC0: 8F3F853F
	s_lshl_b32 s63, s63, 5                                     // 000000002FC4: 8E3F853F
	s_sub_i32 s63, s63, s62                                    // 000000002FC8: 81BF3E3F
	s_cmp_lt_u32 s63, 0x60                                     // 000000002FCC: BF0AFF3F 00000060
	s_cselect_b32 s62, s63, 0x60                               // 000000002FD4: 853EFF3F 00000060
	s_mul_i32 s22, s39, s62                                    // 000000002FDC: 92163E27
	s_mov_b32 s23, 0x20000                                     // 000000002FE0: BE9700FF 00020000
	v_lshlrev_b32_e32 v217, 2, v0                              // 000000002FE8: 25B20082
	s_mul_i32 s63, s46, 32                                     // 000000002FEC: 923FA02E
	s_mul_i32 s63, s63, s39                                    // 000000002FF0: 923F273F
	v_add_u32_e32 v217, s63, v217                              // 000000002FF4: 69B3B23F
	s_mul_i32 s65, s46, 0x100                                  // 000000002FF8: 9241FF2E 00000100
	s_add_i32 s65, s65, 0                                      // 000000003000: 81418041
	v_lshlrev_b32_e32 v218, 2, v0                              // 000000003004: 25B40082
	v_add_u32_e32 v218, 0, v218                                // 000000003008: 69B5B480
	s_lshr_b32 s38, s38, 1                                     // 00000000300C: 8F268126
	s_mul_i32 s62, s47, 0x180                                  // 000000003010: 923EFF2F 00000180
	s_mul_hi_u32 s63, s38, s62                                 // 000000003018: 963F3E26
	s_add_u32 s17, s17, s63                                    // 00000000301C: 80113F11
	s_mul_i32 s63, s38, s62                                    // 000000003020: 923F3E26
	s_add_u32 s16, s16, s63                                    // 000000003024: 80103F10
	s_addc_u32 s17, s17, 0                                     // 000000003028: 82118011
	s_sub_i32 s63, s44, s62                                    // 00000000302C: 81BF3E2C
	s_cmp_lt_u32 s63, 0x180                                    // 000000003030: BF0AFF3F 00000180
	s_cselect_b32 s62, s63, 0x180                              // 000000003038: 853EFF3F 00000180
	s_mul_i32 s18, s38, s62                                    // 000000003040: 92123E26
	s_mov_b32 s19, 0x20000                                     // 000000003044: BE9300FF 00020000
	v_lshlrev_b32_e32 v219, 4, v0                              // 00000000304C: 25B60084
	s_mul_i32 s63, s46, 0x60                                   // 000000003050: 923FFF2E 00000060
	s_mul_i32 s62, s63, s38                                    // 000000003058: 923E263F
	v_add_u32_e32 v219, s62, v219                              // 00000000305C: 69B7B63E
	s_mul_i32 s62, 16, s38                                     // 000000003060: 923E2690
	v_add_u32_e32 v220, s62, v219                              // 000000003064: 69B9B63E
	v_add_u32_e32 v221, s62, v220                              // 000000003068: 69BBB83E
	v_add_u32_e32 v222, s62, v221                              // 00000000306C: 69BDBA3E
	v_add_u32_e32 v223, s62, v222                              // 000000003070: 69BFBC3E
	v_add_u32_e32 v224, s62, v223                              // 000000003074: 69C1BE3E
	s_mul_i32 s62, s47, 0x180                                  // 000000003078: 923EFF2F 00000180
	s_mul_hi_u32 s63, s40, s62                                 // 000000003080: 963F3E28
	s_add_u32 s25, s25, s63                                    // 000000003084: 80193F19
	s_mul_i32 s63, s40, s62                                    // 000000003088: 923F3E28
	s_add_u32 s24, s24, s63                                    // 00000000308C: 80183F18
	s_addc_u32 s25, s25, 0                                     // 000000003090: 82198019
	s_sub_i32 s63, s44, s62                                    // 000000003094: 81BF3E2C
	s_cmp_lt_u32 s63, 0x180                                    // 000000003098: BF0AFF3F 00000180
	s_cselect_b32 s62, s63, 0x180                              // 0000000030A0: 853EFF3F 00000180
	s_mul_i32 s26, s40, s62                                    // 0000000030A8: 921A3E28
	s_mov_b32 s27, 0x20000                                     // 0000000030AC: BE9B00FF 00020000
	v_lshlrev_b32_e32 v225, 2, v0                              // 0000000030B4: 25C20082
	s_mul_i32 s63, s46, 0x60                                   // 0000000030B8: 923FFF2E 00000060
	s_mul_i32 s63, s63, s40                                    // 0000000030C0: 923F283F
	v_add_u32_e32 v225, s63, v225                              // 0000000030C4: 69C3C23F
	s_mul_i32 s62, 32, s40                                     // 0000000030C8: 923E28A0
	v_add_u32_e32 v226, s62, v225                              // 0000000030CC: 69C5C23E
	v_add_u32_e32 v227, s62, v226                              // 0000000030D0: 69C7C43E
	s_mov_b32 s66, 0x80                                        // 0000000030D4: BEC200FF 00000080
	s_mov_b32 s67, 0x800                                       // 0000000030DC: BEC300FF 00000800
	s_mov_b32 s68, 0x100                                       // 0000000030E4: BEC400FF 00000100
	s_mov_b32 s69, 0x100                                       // 0000000030EC: BEC500FF 00000100
	s_mov_b32 s60, 0                                           // 0000000030F4: BEBC0080
	s_mov_b32 s61, s45                                         // 0000000030F8: BEBD002D
	s_add_u32 m0, 0, s65                                       // 0000000030FC: 807C4180
	buffer_load_dword v217, s[20:23], 0 offen lds              // 000000003100: E0511000 800500D9
	v_accvgpr_write_b32 a0, 0                                  // 000000003108: D3D94000 18000080
	v_accvgpr_write_b32 a1, 0                                  // 000000003110: D3D94001 18000080
	v_accvgpr_write_b32 a2, 0                                  // 000000003118: D3D94002 18000080
	v_accvgpr_write_b32 a3, 0                                  // 000000003120: D3D94003 18000080
	v_accvgpr_write_b32 a4, 0                                  // 000000003128: D3D94004 18000080
	v_accvgpr_write_b32 a5, 0                                  // 000000003130: D3D94005 18000080
	s_add_u32 m0, 0, s64                                       // 000000003138: 807C4080
	buffer_load_dwordx4 v212, s[12:15], 0 offen lds            // 00000000313C: E05D1000 800300D4
	v_accvgpr_write_b32 a6, 0                                  // 000000003144: D3D94006 18000080
	v_accvgpr_write_b32 a7, 0                                  // 00000000314C: D3D94007 18000080
	v_accvgpr_write_b32 a8, 0                                  // 000000003154: D3D94008 18000080
	v_accvgpr_write_b32 a9, 0                                  // 00000000315C: D3D94009 18000080
	v_accvgpr_write_b32 a10, 0                                 // 000000003164: D3D9400A 18000080
	v_accvgpr_write_b32 a11, 0                                 // 00000000316C: D3D9400B 18000080
	s_add_u32 m0, 0x1080, s64                                  // 000000003174: 807C40FF 00001080
	buffer_load_dwordx4 v213, s[12:15], 0 offen lds            // 00000000317C: E05D1000 800300D5
	v_accvgpr_write_b32 a12, 0                                 // 000000003184: D3D9400C 18000080
	v_accvgpr_write_b32 a13, 0                                 // 00000000318C: D3D9400D 18000080
	v_accvgpr_write_b32 a14, 0                                 // 000000003194: D3D9400E 18000080
	v_accvgpr_write_b32 a15, 0                                 // 00000000319C: D3D9400F 18000080
	v_accvgpr_write_b32 a16, 0                                 // 0000000031A4: D3D94010 18000080
	v_accvgpr_write_b32 a17, 0                                 // 0000000031AC: D3D94011 18000080
	buffer_load_dwordx4 v[104:107], v219, s[16:19], 0 offen    // 0000000031B4: E05C1000 800468DB
	v_accvgpr_write_b32 a18, 0                                 // 0000000031BC: D3D94012 18000080
	v_accvgpr_write_b32 a19, 0                                 // 0000000031C4: D3D94013 18000080
	v_accvgpr_write_b32 a20, 0                                 // 0000000031CC: D3D94014 18000080
	v_accvgpr_write_b32 a21, 0                                 // 0000000031D4: D3D94015 18000080
	v_accvgpr_write_b32 a22, 0                                 // 0000000031DC: D3D94016 18000080
	v_accvgpr_write_b32 a23, 0                                 // 0000000031E4: D3D94017 18000080
	buffer_load_dwordx4 v[108:111], v220, s[16:19], 0 offen    // 0000000031EC: E05C1000 80046CDC
	v_accvgpr_write_b32 a24, 0                                 // 0000000031F4: D3D94018 18000080
	v_accvgpr_write_b32 a25, 0                                 // 0000000031FC: D3D94019 18000080
	v_accvgpr_write_b32 a26, 0                                 // 000000003204: D3D9401A 18000080
	v_accvgpr_write_b32 a27, 0                                 // 00000000320C: D3D9401B 18000080
	v_accvgpr_write_b32 a28, 0                                 // 000000003214: D3D9401C 18000080
	v_accvgpr_write_b32 a29, 0                                 // 00000000321C: D3D9401D 18000080
	buffer_load_dwordx4 v[112:115], v219, s[16:19], 0 offen offset:1024// 000000003224: E05C1400 800470DB
	v_accvgpr_write_b32 a30, 0                                 // 00000000322C: D3D9401E 18000080
	v_accvgpr_write_b32 a31, 0                                 // 000000003234: D3D9401F 18000080
	v_accvgpr_write_b32 a32, 0                                 // 00000000323C: D3D94020 18000080
	v_accvgpr_write_b32 a33, 0                                 // 000000003244: D3D94021 18000080
	v_accvgpr_write_b32 a34, 0                                 // 00000000324C: D3D94022 18000080
	v_accvgpr_write_b32 a35, 0                                 // 000000003254: D3D94023 18000080
	buffer_load_dwordx4 v[116:119], v220, s[16:19], 0 offen offset:1024// 00000000325C: E05C1400 800474DC
	v_accvgpr_write_b32 a36, 0                                 // 000000003264: D3D94024 18000080
	v_accvgpr_write_b32 a37, 0                                 // 00000000326C: D3D94025 18000080
	v_accvgpr_write_b32 a38, 0                                 // 000000003274: D3D94026 18000080
	v_accvgpr_write_b32 a39, 0                                 // 00000000327C: D3D94027 18000080
	v_accvgpr_write_b32 a40, 0                                 // 000000003284: D3D94028 18000080
	v_accvgpr_write_b32 a41, 0                                 // 00000000328C: D3D94029 18000080
	buffer_load_dword v206, v225, s[24:27], 0 offen            // 000000003294: E0501000 8006CEE1
	v_accvgpr_write_b32 a42, 0                                 // 00000000329C: D3D9402A 18000080
	v_accvgpr_write_b32 a43, 0                                 // 0000000032A4: D3D9402B 18000080
	v_accvgpr_write_b32 a44, 0                                 // 0000000032AC: D3D9402C 18000080
	v_accvgpr_write_b32 a45, 0                                 // 0000000032B4: D3D9402D 18000080
	v_accvgpr_write_b32 a46, 0                                 // 0000000032BC: D3D9402E 18000080
	v_accvgpr_write_b32 a47, 0                                 // 0000000032C4: D3D9402F 18000080
	s_add_u32 m0, 0x2100, s64                                  // 0000000032CC: 807C40FF 00002100
	buffer_load_dwordx4 v214, s[12:15], 0 offen lds            // 0000000032D4: E05D1000 800300D6
	v_accvgpr_write_b32 a48, 0                                 // 0000000032DC: D3D94030 18000080
	v_accvgpr_write_b32 a49, 0                                 // 0000000032E4: D3D94031 18000080
	v_accvgpr_write_b32 a50, 0                                 // 0000000032EC: D3D94032 18000080
	v_accvgpr_write_b32 a51, 0                                 // 0000000032F4: D3D94033 18000080
	v_accvgpr_write_b32 a52, 0                                 // 0000000032FC: D3D94034 18000080
	v_accvgpr_write_b32 a53, 0                                 // 000000003304: D3D94035 18000080
	s_add_u32 s62, 0x100, s60                                  // 00000000330C: 803E3CFF 00000100
	s_cmp_lt_u32 s62, s61                                      // 000000003314: BF0A3D3E
	s_cselect_b32 s66, s66, 0                                  // 000000003318: 85428042
	s_cselect_b32 s68, s68, 0                                  // 00000000331C: 85448044
	s_add_u32 s12, s12, s66                                    // 000000003320: 800C420C
	s_addc_u32 s13, 0, s13                                     // 000000003324: 820D0D80
	s_sub_u32 s14, s14, s66                                    // 000000003328: 808E420E
	s_add_u32 s20, s20, s68                                    // 00000000332C: 80144414
	s_addc_u32 s21, 0, s21                                     // 000000003330: 82151580
	s_sub_u32 s22, s22, s68                                    // 000000003334: 80964416
	buffer_load_dwordx4 v[120:123], v221, s[16:19], 0 offen    // 000000003338: E05C1000 800478DD
	v_accvgpr_write_b32 a54, 0                                 // 000000003340: D3D94036 18000080
	v_accvgpr_write_b32 a55, 0                                 // 000000003348: D3D94037 18000080
	v_accvgpr_write_b32 a56, 0                                 // 000000003350: D3D94038 18000080
	v_accvgpr_write_b32 a57, 0                                 // 000000003358: D3D94039 18000080
	v_accvgpr_write_b32 a58, 0                                 // 000000003360: D3D9403A 18000080
	v_accvgpr_write_b32 a59, 0                                 // 000000003368: D3D9403B 18000080
	buffer_load_dwordx4 v[124:127], v222, s[16:19], 0 offen    // 000000003370: E05C1000 80047CDE
	v_accvgpr_write_b32 a60, 0                                 // 000000003378: D3D9403C 18000080
	v_accvgpr_write_b32 a61, 0                                 // 000000003380: D3D9403D 18000080
	v_accvgpr_write_b32 a62, 0                                 // 000000003388: D3D9403E 18000080
	v_accvgpr_write_b32 a63, 0                                 // 000000003390: D3D9403F 18000080
	v_accvgpr_write_b32 a64, 0                                 // 000000003398: D3D94040 18000080
	v_accvgpr_write_b32 a65, 0                                 // 0000000033A0: D3D94041 18000080
	buffer_load_dwordx4 v[128:131], v221, s[16:19], 0 offen offset:1024// 0000000033A8: E05C1400 800480DD
	v_accvgpr_write_b32 a66, 0                                 // 0000000033B0: D3D94042 18000080
	v_accvgpr_write_b32 a67, 0                                 // 0000000033B8: D3D94043 18000080
	v_accvgpr_write_b32 a68, 0                                 // 0000000033C0: D3D94044 18000080
	v_accvgpr_write_b32 a69, 0                                 // 0000000033C8: D3D94045 18000080
	v_accvgpr_write_b32 a70, 0                                 // 0000000033D0: D3D94046 18000080
	v_accvgpr_write_b32 a71, 0                                 // 0000000033D8: D3D94047 18000080
	buffer_load_dwordx4 v[132:135], v222, s[16:19], 0 offen offset:1024// 0000000033E0: E05C1400 800484DE
	v_accvgpr_write_b32 a72, 0                                 // 0000000033E8: D3D94048 18000080
	v_accvgpr_write_b32 a73, 0                                 // 0000000033F0: D3D94049 18000080
	v_accvgpr_write_b32 a74, 0                                 // 0000000033F8: D3D9404A 18000080
	v_accvgpr_write_b32 a75, 0                                 // 000000003400: D3D9404B 18000080
	v_accvgpr_write_b32 a76, 0                                 // 000000003408: D3D9404C 18000080
	v_accvgpr_write_b32 a77, 0                                 // 000000003410: D3D9404D 18000080
	buffer_load_dword v207, v226, s[24:27], 0 offen            // 000000003418: E0501000 8006CFE2
	v_accvgpr_write_b32 a78, 0                                 // 000000003420: D3D9404E 18000080
	v_accvgpr_write_b32 a79, 0                                 // 000000003428: D3D9404F 18000080
	v_accvgpr_write_b32 a80, 0                                 // 000000003430: D3D94050 18000080
	v_accvgpr_write_b32 a81, 0                                 // 000000003438: D3D94051 18000080
	v_accvgpr_write_b32 a82, 0                                 // 000000003440: D3D94052 18000080
	v_accvgpr_write_b32 a83, 0                                 // 000000003448: D3D94053 18000080
	buffer_load_dwordx4 v[136:139], v223, s[16:19], 0 offen    // 000000003450: E05C1000 800488DF
	v_accvgpr_write_b32 a84, 0                                 // 000000003458: D3D94054 18000080
	v_accvgpr_write_b32 a85, 0                                 // 000000003460: D3D94055 18000080
	v_accvgpr_write_b32 a86, 0                                 // 000000003468: D3D94056 18000080
	v_accvgpr_write_b32 a87, 0                                 // 000000003470: D3D94057 18000080
	v_accvgpr_write_b32 a88, 0                                 // 000000003478: D3D94058 18000080
	v_accvgpr_write_b32 a89, 0                                 // 000000003480: D3D94059 18000080
	buffer_load_dwordx4 v[140:143], v224, s[16:19], 0 offen    // 000000003488: E05C1000 80048CE0
	v_accvgpr_write_b32 a90, 0                                 // 000000003490: D3D9405A 18000080
	v_accvgpr_write_b32 a91, 0                                 // 000000003498: D3D9405B 18000080
	v_accvgpr_write_b32 a92, 0                                 // 0000000034A0: D3D9405C 18000080
	v_accvgpr_write_b32 a93, 0                                 // 0000000034A8: D3D9405D 18000080
	v_accvgpr_write_b32 a94, 0                                 // 0000000034B0: D3D9405E 18000080
	v_accvgpr_write_b32 a95, 0                                 // 0000000034B8: D3D9405F 18000080
	buffer_load_dwordx4 v[144:147], v223, s[16:19], 0 offen offset:1024// 0000000034C0: E05C1400 800490DF
	v_accvgpr_write_b32 a96, 0                                 // 0000000034C8: D3D94060 18000080
	v_accvgpr_write_b32 a97, 0                                 // 0000000034D0: D3D94061 18000080
	v_accvgpr_write_b32 a98, 0                                 // 0000000034D8: D3D94062 18000080
	v_accvgpr_write_b32 a99, 0                                 // 0000000034E0: D3D94063 18000080
	v_accvgpr_write_b32 a100, 0                                // 0000000034E8: D3D94064 18000080
	v_accvgpr_write_b32 a101, 0                                // 0000000034F0: D3D94065 18000080
	buffer_load_dwordx4 v[148:151], v224, s[16:19], 0 offen offset:1024// 0000000034F8: E05C1400 800494E0
	v_accvgpr_write_b32 a102, 0                                // 000000003500: D3D94066 18000080
	v_accvgpr_write_b32 a103, 0                                // 000000003508: D3D94067 18000080
	v_accvgpr_write_b32 a104, 0                                // 000000003510: D3D94068 18000080
	v_accvgpr_write_b32 a105, 0                                // 000000003518: D3D94069 18000080
	v_accvgpr_write_b32 a106, 0                                // 000000003520: D3D9406A 18000080
	v_accvgpr_write_b32 a107, 0                                // 000000003528: D3D9406B 18000080
	buffer_load_dword v208, v227, s[24:27], 0 offen            // 000000003530: E0501000 8006D0E3
	v_accvgpr_write_b32 a108, 0                                // 000000003538: D3D9406C 18000080
	v_accvgpr_write_b32 a109, 0                                // 000000003540: D3D9406D 18000080
	v_accvgpr_write_b32 a110, 0                                // 000000003548: D3D9406E 18000080
	v_accvgpr_write_b32 a111, 0                                // 000000003550: D3D9406F 18000080
	v_accvgpr_write_b32 a112, 0                                // 000000003558: D3D94070 18000080
	v_accvgpr_write_b32 a113, 0                                // 000000003560: D3D94071 18000080
	s_add_u32 s63, 0x100, s60                                  // 000000003568: 803F3CFF 00000100
	s_cmp_lt_u32 s63, s61                                      // 000000003570: BF0A3D3F
	s_cselect_b32 s67, s67, 0                                  // 000000003574: 85438043
	s_cselect_b32 s69, s69, 0                                  // 000000003578: 85458045
	s_add_u32 s16, s16, s67                                    // 00000000357C: 80104310
	s_addc_u32 s17, 0, s17                                     // 000000003580: 82111180
	s_sub_u32 s18, s18, s67                                    // 000000003584: 80924312
	s_add_u32 s24, s24, s69                                    // 000000003588: 80184518
	s_addc_u32 s25, 0, s25                                     // 00000000358C: 82191980
	s_sub_u32 s26, s26, s69                                    // 000000003590: 809A451A
	v_accvgpr_write_b32 a114, 0                                // 000000003594: D3D94072 18000080
	v_accvgpr_write_b32 a115, 0                                // 00000000359C: D3D94073 18000080
	v_accvgpr_write_b32 a116, 0                                // 0000000035A4: D3D94074 18000080
	v_accvgpr_write_b32 a117, 0                                // 0000000035AC: D3D94075 18000080
	v_accvgpr_write_b32 a118, 0                                // 0000000035B4: D3D94076 18000080
	v_accvgpr_write_b32 a119, 0                                // 0000000035BC: D3D94077 18000080
	v_accvgpr_write_b32 a120, 0                                // 0000000035C4: D3D94078 18000080
	v_accvgpr_write_b32 a121, 0                                // 0000000035CC: D3D94079 18000080
	v_accvgpr_write_b32 a122, 0                                // 0000000035D4: D3D9407A 18000080
	v_accvgpr_write_b32 a123, 0                                // 0000000035DC: D3D9407B 18000080
	v_accvgpr_write_b32 a124, 0                                // 0000000035E4: D3D9407C 18000080
	v_accvgpr_write_b32 a125, 0                                // 0000000035EC: D3D9407D 18000080
	v_accvgpr_write_b32 a126, 0                                // 0000000035F4: D3D9407E 18000080
	v_accvgpr_write_b32 a127, 0                                // 0000000035FC: D3D9407F 18000080
	v_accvgpr_write_b32 a128, 0                                // 000000003604: D3D94080 18000080
	v_accvgpr_write_b32 a129, 0                                // 00000000360C: D3D94081 18000080
	v_accvgpr_write_b32 a130, 0                                // 000000003614: D3D94082 18000080
	v_accvgpr_write_b32 a131, 0                                // 00000000361C: D3D94083 18000080
	v_accvgpr_write_b32 a132, 0                                // 000000003624: D3D94084 18000080
	v_accvgpr_write_b32 a133, 0                                // 00000000362C: D3D94085 18000080
	v_accvgpr_write_b32 a134, 0                                // 000000003634: D3D94086 18000080
	v_accvgpr_write_b32 a135, 0                                // 00000000363C: D3D94087 18000080
	v_accvgpr_write_b32 a136, 0                                // 000000003644: D3D94088 18000080
	v_accvgpr_write_b32 a137, 0                                // 00000000364C: D3D94089 18000080
	v_accvgpr_write_b32 a138, 0                                // 000000003654: D3D9408A 18000080
	v_accvgpr_write_b32 a139, 0                                // 00000000365C: D3D9408B 18000080
	v_accvgpr_write_b32 a140, 0                                // 000000003664: D3D9408C 18000080
	v_accvgpr_write_b32 a141, 0                                // 00000000366C: D3D9408D 18000080
	v_accvgpr_write_b32 a142, 0                                // 000000003674: D3D9408E 18000080
	v_accvgpr_write_b32 a143, 0                                // 00000000367C: D3D9408F 18000080
	s_waitcnt vmcnt(16)                                        // 000000003684: BF8C4F70
	s_barrier                                                  // 000000003688: BF8A0000
	ds_read_b128 v[8:11], v215                                 // 00000000368C: D9FE0000 080000D7
	ds_read_b128 v[16:19], v215 offset:64                      // 000000003694: D9FE0040 100000D7
	ds_read_b128 v[12:15], v215 offset:512                     // 00000000369C: D9FE0200 0C0000D7
	ds_read_b128 v[20:23], v215 offset:576                     // 0000000036A4: D9FE0240 140000D7
	ds_read_b32 v200, v218                                     // 0000000036AC: D86C0000 C80000DA
	ds_read_b128 v[24:27], v215 offset:4224                    // 0000000036B4: D9FE1080 180000D7
	ds_read_b128 v[32:35], v215 offset:4288                    // 0000000036BC: D9FE10C0 200000D7
	ds_read_b128 v[28:31], v215 offset:4736                    // 0000000036C4: D9FE1280 1C0000D7
	ds_read_b128 v[36:39], v215 offset:4800                    // 0000000036CC: D9FE12C0 240000D7
	ds_read_b32 v201, v218 offset:256                          // 0000000036D4: D86C0100 C90000DA
	s_nop 0                                                    // 0000000036DC: BF800000
	s_nop 0                                                    // 0000000036E0: BF800000
	s_nop 0                                                    // 0000000036E4: BF800000
	s_nop 0                                                    // 0000000036E8: BF800000
	s_nop 0                                                    // 0000000036EC: BF800000
	s_lshl_b32 s36, s36, 1                                     // 0000000036F0: 8E248124
	s_mul_i32 s62, s48, 0x60                                   // 0000000036F4: 923EFF30 00000060
	s_mul_hi_u32 s63, s36, s62                                 // 0000000036FC: 963F3E24
	s_add_u32 s5, s5, s63                                      // 000000003700: 80053F05
	s_mul_i32 s63, s36, s62                                    // 000000003704: 923F3E24
	s_add_u32 s4, s4, s63                                      // 000000003708: 80043F04
	s_addc_u32 s5, s5, 0                                       // 00000000370C: 82058005
	s_mul_i32 s63, s47, 0x180                                  // 000000003710: 923FFF2F 00000180
	s_lshl_b32 s63, s63, 1                                     // 000000003718: 8E3F813F
	s_add_u32 s4, s4, s63                                      // 00000000371C: 80043F04
	s_addc_u32 s5, s5, 0                                       // 000000003720: 82058005
	s_sub_i32 s62, s43, s62                                    // 000000003724: 81BE3E2B
	s_cmp_lt_u32 s62, 0x60                                     // 000000003728: BF0AFF3E 00000060
	s_cselect_b32 s62, s62, 0x60                               // 000000003730: 853EFF3E 00000060
	s_mul_i32 s62, s36, s62                                    // 000000003738: 923E3E24
	s_sub_i32 s6, s62, s63                                     // 00000000373C: 81863F3E
	s_mov_b32 s7, 0x20000                                      // 000000003740: BE8700FF 00020000
	s_mul_i32 s62, s46, 0x60                                   // 000000003748: 923EFF2E 00000060
	s_lshl_b32 s62, s62, 1                                     // 000000003750: 8E3E813E
	v_lshrrev_b32_e32 v4, 5, v0                                // 000000003754: 20080085
	v_mul_i32_i24_e32 v4, 16, v4                               // 000000003758: 0C080890
	v_lshrrev_b32_e32 v5, 4, v0                                // 00000000375C: 200A0084
	v_and_b32_e32 v5, 1, v5                                    // 000000003760: 260A0A81
	v_mul_i32_i24_e32 v5, 32, v5                               // 000000003764: 0C0A0AA0
	v_add_u32_e32 v4, v4, v5                                   // 000000003768: 68080B04
	v_and_b32_e32 v5, 15, v0                                   // 00000000376C: 260A008F
	v_mul_lo_u32 v228, s36, v5                                 // 000000003770: D28500E4 00020A24
	v_add_u32_e32 v228, s62, v228                              // 000000003778: 69C9C83E
	v_add_u32_e32 v228, v4, v228                               // 00000000377C: 69C9C904
	s_cmp_lt_i32 s46, 2                                        // 000000003780: BF04822E
	s_cbranch_scc0 label_05FB                                  // 000000003784: BF840319

0000000000003788 <label_02E2>:
	s_waitcnt vmcnt(10) lgkmcnt(5)                             // 000000003788: BF8C057A
	s_barrier                                                  // 00000000378C: BF8A0000
	v_mfma_scale_f32_16x16x128_f8f6f4 a[0:3], v[104:107], v[8:11], a[0:3], v206, v200 op_sel_hi:[0,0,0] cbsz:4 blgp:4// 000000003790: D3AC6000 000391CE D3AD8C00 84021168
	ds_read_b128 v[40:43], v215 offset:8448                    // 0000000037A0: D9FE2100 280000D7
	v_mfma_scale_f32_16x16x128_f8f6f4 a[4:7], v[104:107], v[12:15], a[4:7], v206, v200 op_sel_hi:[0,0,0] cbsz:4 blgp:4// 0000000037A8: D3AC7000 000391CE D3AD8C04 84121968
	s_add_u32 m0, 0x400, s65                                   // 0000000037B8: 807C41FF 00000400
	buffer_load_dword v217, s[20:23], 0 offen lds              // 0000000037C0: E0511000 800500D9
	v_mfma_scale_f32_16x16x128_f8f6f4 a[8:11], v[108:111], v[8:11], a[8:11], v206, v200 op_sel_hi:[0,0,0] cbsz:4 blgp:4// 0000000037C8: D3AC6800 000391CE D3AD8C08 8422116C
	ds_read_b128 v[48:51], v215 offset:8512                    // 0000000037D8: D9FE2140 300000D7
	v_mfma_scale_f32_16x16x128_f8f6f4 a[12:15], v[108:111], v[12:15], a[12:15], v206, v200 op_sel_hi:[0,0,0] cbsz:4 blgp:4// 0000000037E0: D3AC7800 000391CE D3AD8C0C 8432196C
	s_add_u32 m0, 0x3180, s64                                  // 0000000037F0: 807C40FF 00003180
	buffer_load_dwordx4 v212, s[12:15], 0 offen lds            // 0000000037F8: E05D1000 800300D4
	v_mfma_scale_f32_16x16x128_f8f6f4 a[0:3], v[112:115], v[16:19], a[0:3], v206, v200 op_sel_hi:[0,0,0] cbsz:4 blgp:4// 000000003800: D3AC6000 180391CE D3AD8C00 84022170
	ds_read_b128 v[44:47], v215 offset:8960                    // 000000003810: D9FE2300 2C0000D7
	v_mfma_scale_f32_16x16x128_f8f6f4 a[4:7], v[112:115], v[20:23], a[4:7], v206, v200 op_sel_hi:[0,0,0] cbsz:4 blgp:4// 000000003818: D3AC7000 180391CE D3AD8C04 84122970
	s_add_u32 m0, 0x4200, s64                                  // 000000003828: 807C40FF 00004200
	buffer_load_dwordx4 v213, s[12:15], 0 offen lds            // 000000003830: E05D1000 800300D5
	v_mfma_scale_f32_16x16x128_f8f6f4 a[8:11], v[116:119], v[16:19], a[8:11], v206, v200 op_sel_hi:[0,0,0] cbsz:4 blgp:4// 000000003838: D3AC6800 180391CE D3AD8C08 84222174
	ds_read_b128 v[52:55], v215 offset:9024                    // 000000003848: D9FE2340 340000D7
	v_mfma_scale_f32_16x16x128_f8f6f4 a[12:15], v[116:119], v[20:23], a[12:15], v206, v200 op_sel_hi:[0,0,0] cbsz:4 blgp:4// 000000003850: D3AC7800 180391CE D3AD8C0C 84322974
	buffer_load_dwordx4 v[152:155], v219, s[16:19], 0 offen    // 000000003860: E05C1000 800498DB
	ds_read_b32 v202, v218 offset:512                          // 000000003868: D86C0200 CA0000DA
	s_waitcnt lgkmcnt(5)                                       // 000000003870: BF8CC57F
	v_mfma_scale_f32_16x16x128_f8f6f4 a[48:51], v[104:107], v[24:27], a[48:51], v206, v201 op_sel_hi:[0,0,0] cbsz:4 blgp:4// 000000003874: D3AC6000 000393CE D3AD8C30 84C23168
	v_mfma_scale_f32_16x16x128_f8f6f4 a[52:55], v[104:107], v[28:31], a[52:55], v206, v201 op_sel_hi:[0,0,0] cbsz:4 blgp:4// 000000003884: D3AC7000 000393CE D3AD8C34 84D23968
	buffer_load_dwordx4 v[156:159], v220, s[16:19], 0 offen    // 000000003894: E05C1000 80049CDC
	v_mfma_scale_f32_16x16x128_f8f6f4 a[56:59], v[108:111], v[24:27], a[56:59], v206, v201 op_sel_hi:[0,0,0] cbsz:4 blgp:4// 00000000389C: D3AC6800 000393CE D3AD8C38 84E2316C
	v_mfma_scale_f32_16x16x128_f8f6f4 a[60:63], v[108:111], v[28:31], a[60:63], v206, v201 op_sel_hi:[0,0,0] cbsz:4 blgp:4// 0000000038AC: D3AC7800 000393CE D3AD8C3C 84F2396C
	buffer_load_dwordx4 v[160:163], v219, s[16:19], 0 offen offset:1024// 0000000038BC: E05C1400 8004A0DB
	v_mfma_scale_f32_16x16x128_f8f6f4 a[48:51], v[112:115], v[32:35], a[48:51], v206, v201 op_sel_hi:[0,0,0] cbsz:4 blgp:4// 0000000038C4: D3AC6000 180393CE D3AD8C30 84C24170
	v_mfma_scale_f32_16x16x128_f8f6f4 a[52:55], v[112:115], v[36:39], a[52:55], v206, v201 op_sel_hi:[0,0,0] cbsz:4 blgp:4// 0000000038D4: D3AC7000 180393CE D3AD8C34 84D24970
	buffer_load_dwordx4 v[164:167], v220, s[16:19], 0 offen offset:1024// 0000000038E4: E05C1400 8004A4DC
	v_mfma_scale_f32_16x16x128_f8f6f4 a[56:59], v[116:119], v[32:35], a[56:59], v206, v201 op_sel_hi:[0,0,0] cbsz:4 blgp:4// 0000000038EC: D3AC6800 180393CE D3AD8C38 84E24174
	v_mfma_scale_f32_16x16x128_f8f6f4 a[60:63], v[116:119], v[36:39], a[60:63], v206, v201 op_sel_hi:[0,0,0] cbsz:4 blgp:4// 0000000038FC: D3AC7800 180393CE D3AD8C3C 84F24974
	buffer_load_dword v209, v225, s[24:27], 0 offen            // 00000000390C: E0501000 8006D1E1
	s_waitcnt lgkmcnt(0)                                       // 000000003914: BF8CC07F
	v_mfma_scale_f32_16x16x128_f8f6f4 a[96:99], v[104:107], v[40:43], a[96:99], v206, v202 op_sel_hi:[0,0,0] cbsz:4 blgp:4// 000000003918: D3AC6000 000395CE D3AD8C60 85825168
	v_mfma_scale_f32_16x16x128_f8f6f4 a[100:103], v[104:107], v[44:47], a[100:103], v206, v202 op_sel_hi:[0,0,0] cbsz:4 blgp:4// 000000003928: D3AC7000 000395CE D3AD8C64 85925968
	v_mfma_scale_f32_16x16x128_f8f6f4 a[104:107], v[108:111], v[40:43], a[104:107], v206, v202 op_sel_hi:[0,0,0] cbsz:4 blgp:4// 000000003938: D3AC6800 000395CE D3AD8C68 85A2516C
	v_mfma_scale_f32_16x16x128_f8f6f4 a[108:111], v[108:111], v[44:47], a[108:111], v206, v202 op_sel_hi:[0,0,0] cbsz:4 blgp:4// 000000003948: D3AC7800 000395CE D3AD8C6C 85B2596C
	v_mfma_scale_f32_16x16x128_f8f6f4 a[96:99], v[112:115], v[48:51], a[96:99], v206, v202 op_sel_hi:[0,0,0] cbsz:4 blgp:4// 000000003958: D3AC6000 180395CE D3AD8C60 85826170
	v_mfma_scale_f32_16x16x128_f8f6f4 a[100:103], v[112:115], v[52:55], a[100:103], v206, v202 op_sel_hi:[0,0,0] cbsz:4 blgp:4// 000000003968: D3AC7000 180395CE D3AD8C64 85926970
	v_mfma_scale_f32_16x16x128_f8f6f4 a[104:107], v[116:119], v[48:51], a[104:107], v206, v202 op_sel_hi:[0,0,0] cbsz:4 blgp:4// 000000003978: D3AC6800 180395CE D3AD8C68 85A26174
	v_mfma_scale_f32_16x16x128_f8f6f4 a[108:111], v[116:119], v[52:55], a[108:111], v206, v202 op_sel_hi:[0,0,0] cbsz:4 blgp:4// 000000003988: D3AC7800 180395CE D3AD8C6C 85B26974
	s_waitcnt vmcnt(13)                                        // 000000003998: BF8C0F7D
	v_mfma_scale_f32_16x16x128_f8f6f4 a[16:19], v[120:123], v[8:11], a[16:19], v207, v200 op_sel_hi:[0,0,0] cbsz:4 blgp:4// 00000000399C: D3AC6000 000391CF D3AD8C10 84421178
	v_mfma_scale_f32_16x16x128_f8f6f4 a[20:23], v[120:123], v[12:15], a[20:23], v207, v200 op_sel_hi:[0,0,0] cbsz:4 blgp:4// 0000000039AC: D3AC7000 000391CF D3AD8C14 84521978
	s_add_u32 m0, 0x5280, s64                                  // 0000000039BC: 807C40FF 00005280
	buffer_load_dwordx4 v214, s[12:15], 0 offen lds            // 0000000039C4: E05D1000 800300D6
	v_mfma_scale_f32_16x16x128_f8f6f4 a[24:27], v[124:127], v[8:11], a[24:27], v207, v200 op_sel_hi:[0,0,0] cbsz:4 blgp:4// 0000000039CC: D3AC6800 000391CF D3AD8C18 8462117C
	s_add_u32 s62, 0x200, s60                                  // 0000000039DC: 803E3CFF 00000200
	s_cmp_lt_u32 s62, s61                                      // 0000000039E4: BF0A3D3E
	v_mfma_scale_f32_16x16x128_f8f6f4 a[28:31], v[124:127], v[12:15], a[28:31], v207, v200 op_sel_hi:[0,0,0] cbsz:4 blgp:4// 0000000039E8: D3AC7800 000391CF D3AD8C1C 8472197C
	s_cselect_b32 s66, s66, 0                                  // 0000000039F8: 85428042
	buffer_load_dwordx4 v[168:171], v221, s[16:19], 0 offen    // 0000000039FC: E05C1000 8004A8DD
	v_mfma_scale_f32_16x16x128_f8f6f4 a[16:19], v[128:131], v[16:19], a[16:19], v207, v200 op_sel_hi:[0,0,0] cbsz:4 blgp:4// 000000003A04: D3AC6000 180391CF D3AD8C10 84422180
	s_cselect_b32 s68, s68, 0                                  // 000000003A14: 85448044
	s_add_u32 s12, s12, s66                                    // 000000003A18: 800C420C
	v_mfma_scale_f32_16x16x128_f8f6f4 a[20:23], v[128:131], v[20:23], a[20:23], v207, v200 op_sel_hi:[0,0,0] cbsz:4 blgp:4// 000000003A1C: D3AC5000 180391CF D3AD8C14 84522980
	s_addc_u32 s13, 0, s13                                     // 000000003A2C: 820D0D80
	buffer_load_dwordx4 v[172:175], v222, s[16:19], 0 offen    // 000000003A30: E05C1000 8004ACDE
	v_mfma_scale_f32_16x16x128_f8f6f4 a[24:27], v[132:135], v[16:19], a[24:27], v207, v200 op_sel_hi:[0,0,0] cbsz:4 blgp:4// 000000003A38: D3AC6800 180391CF D3AD8C18 84622184
	s_sub_u32 s14, s14, s66                                    // 000000003A48: 808E420E
	s_add_u32 s20, s20, s68                                    // 000000003A4C: 80144414
	v_mfma_scale_f32_16x16x128_f8f6f4 a[28:31], v[132:135], v[20:23], a[28:31], v207, v200 op_sel_hi:[0,0,0] cbsz:4 blgp:4// 000000003A50: D3AC7800 180391CF D3AD8C1C 84722984
	s_addc_u32 s21, 0, s21                                     // 000000003A60: 82151580
	buffer_load_dwordx4 v[176:179], v221, s[16:19], 0 offen offset:1024// 000000003A64: E05C1400 8004B0DD
	v_mfma_scale_f32_16x16x128_f8f6f4 a[64:67], v[120:123], v[24:27], a[64:67], v207, v201 op_sel_hi:[0,0,0] cbsz:4 blgp:4// 000000003A6C: D3AC6000 000393CF D3AD8C40 85023178
	s_sub_u32 s22, s22, s68                                    // 000000003A7C: 80964416
	v_mfma_scale_f32_16x16x128_f8f6f4 a[68:71], v[120:123], v[28:31], a[68:71], v207, v201 op_sel_hi:[0,0,0] cbsz:4 blgp:4// 000000003A80: D3AC7000 000393CF D3AD8C44 85123978
	buffer_load_dwordx4 v[180:183], v222, s[16:19], 0 offen offset:1024// 000000003A90: E05C1400 8004B4DE
	v_mfma_scale_f32_16x16x128_f8f6f4 a[72:75], v[124:127], v[24:27], a[72:75], v207, v201 op_sel_hi:[0,0,0] cbsz:4 blgp:4// 000000003A98: D3AC6800 000393CF D3AD8C48 8522317C
	v_mfma_scale_f32_16x16x128_f8f6f4 a[76:79], v[124:127], v[28:31], a[76:79], v207, v201 op_sel_hi:[0,0,0] cbsz:4 blgp:4// 000000003AA8: D3AC7800 000393CF D3AD8C4C 8532397C
	buffer_load_dword v210, v226, s[24:27], 0 offen            // 000000003AB8: E0501000 8006D2E2
	v_mfma_scale_f32_16x16x128_f8f6f4 a[64:67], v[128:131], v[32:35], a[64:67], v207, v201 op_sel_hi:[0,0,0] cbsz:4 blgp:4// 000000003AC0: D3AC6000 180393CF D3AD8C40 85024180
	v_mfma_scale_f32_16x16x128_f8f6f4 a[68:71], v[128:131], v[36:39], a[68:71], v207, v201 op_sel_hi:[0,0,0] cbsz:4 blgp:4// 000000003AD0: D3AC7000 180393CF D3AD8C44 85124980
	v_mfma_scale_f32_16x16x128_f8f6f4 a[72:75], v[132:135], v[32:35], a[72:75], v207, v201 op_sel_hi:[0,0,0] cbsz:4 blgp:4// 000000003AE0: D3AC6800 180393CF D3AD8C48 85224184
	v_mfma_scale_f32_16x16x128_f8f6f4 a[76:79], v[132:135], v[36:39], a[76:79], v207, v201 op_sel_hi:[0,0,0] cbsz:4 blgp:4// 000000003AF0: D3AC7800 180393CF D3AD8C4C 85324984
	v_mfma_scale_f32_16x16x128_f8f6f4 a[112:115], v[120:123], v[40:43], a[112:115], v207, v202 op_sel_hi:[0,0,0] cbsz:4 blgp:4// 000000003B00: D3AC6000 000395CF D3AD8C70 85C25178
	v_mfma_scale_f32_16x16x128_f8f6f4 a[116:119], v[120:123], v[44:47], a[116:119], v207, v202 op_sel_hi:[0,0,0] cbsz:4 blgp:4// 000000003B10: D3AC7000 000395CF D3AD8C74 85D25978
	v_mfma_scale_f32_16x16x128_f8f6f4 a[120:123], v[124:127], v[40:43], a[120:123], v207, v202 op_sel_hi:[0,0,0] cbsz:4 blgp:4// 000000003B20: D3AC6800 000395CF D3AD8C78 85E2517C
	v_mfma_scale_f32_16x16x128_f8f6f4 a[124:127], v[124:127], v[44:47], a[124:127], v207, v202 op_sel_hi:[0,0,0] cbsz:4 blgp:4// 000000003B30: D3AC5800 000395CF D3AD8C7C 85F2597C
	v_mfma_scale_f32_16x16x128_f8f6f4 a[112:115], v[128:131], v[48:51], a[112:115], v207, v202 op_sel_hi:[0,0,0] cbsz:4 blgp:4// 000000003B40: D3AC6000 180395CF D3AD8C70 85C26180
	v_mfma_scale_f32_16x16x128_f8f6f4 a[116:119], v[128:131], v[52:55], a[116:119], v207, v202 op_sel_hi:[0,0,0] cbsz:4 blgp:4// 000000003B50: D3AC7000 180395CF D3AD8C74 85D26980
	v_mfma_scale_f32_16x16x128_f8f6f4 a[120:123], v[132:135], v[48:51], a[120:123], v207, v202 op_sel_hi:[0,0,0] cbsz:4 blgp:4// 000000003B60: D3AC6800 180395CF D3AD8C78 85E26184
	v_mfma_scale_f32_16x16x128_f8f6f4 a[124:127], v[132:135], v[52:55], a[124:127], v207, v202 op_sel_hi:[0,0,0] cbsz:4 blgp:4// 000000003B70: D3AC7800 180395CF D3AD8C7C 85F26984
	s_waitcnt vmcnt(14)                                        // 000000003B80: BF8C0F7E
	v_mfma_scale_f32_16x16x128_f8f6f4 a[32:35], v[136:139], v[8:11], a[32:35], v208, v200 op_sel_hi:[0,0,0] cbsz:4 blgp:4// 000000003B84: D3AC6000 000391D0 D3AD8C20 84821188
	s_add_u32 s63, 0x200, s60                                  // 000000003B94: 803F3CFF 00000200
	s_cmp_lt_u32 s63, s61                                      // 000000003B9C: BF0A3D3F
	v_mfma_scale_f32_16x16x128_f8f6f4 a[36:39], v[136:139], v[12:15], a[36:39], v208, v200 op_sel_hi:[0,0,0] cbsz:4 blgp:4// 000000003BA0: D3AC7000 000391D0 D3AD8C24 84921988
	s_cselect_b32 s67, s67, 0                                  // 000000003BB0: 85438043
	buffer_load_dwordx4 v[184:187], v223, s[16:19], 0 offen    // 000000003BB4: E05C1000 8004B8DF
	v_mfma_scale_f32_16x16x128_f8f6f4 a[40:43], v[140:143], v[8:11], a[40:43], v208, v200 op_sel_hi:[0,0,0] cbsz:4 blgp:4// 000000003BBC: D3AC6800 000391D0 D3AD8C28 84A2118C
	s_cselect_b32 s69, s69, 0                                  // 000000003BCC: 85458045
	v_mfma_scale_f32_16x16x128_f8f6f4 a[44:47], v[140:143], v[12:15], a[44:47], v208, v200 op_sel_hi:[0,0,0] cbsz:4 blgp:4// 000000003BD0: D3AC7800 000391D0 D3AD8C2C 84B2198C
	buffer_load_dwordx4 v[188:191], v224, s[16:19], 0 offen    // 000000003BE0: E05C1000 8004BCE0
	v_mfma_scale_f32_16x16x128_f8f6f4 a[32:35], v[144:147], v[16:19], a[32:35], v208, v200 op_sel_hi:[0,0,0] cbsz:4 blgp:4// 000000003BE8: D3AC6000 180391D0 D3AD8C20 84822190
	v_mfma_scale_f32_16x16x128_f8f6f4 a[36:39], v[144:147], v[20:23], a[36:39], v208, v200 op_sel_hi:[0,0,0] cbsz:4 blgp:4// 000000003BF8: D3AC7000 180391D0 D3AD8C24 84922990
	buffer_load_dwordx4 v[192:195], v223, s[16:19], 0 offen offset:1024// 000000003C08: E05C1400 8004C0DF
	v_mfma_scale_f32_16x16x128_f8f6f4 a[40:43], v[148:151], v[16:19], a[40:43], v208, v200 op_sel_hi:[0,0,0] cbsz:4 blgp:4// 000000003C10: D3AC6800 180391D0 D3AD8C28 84A22194
	v_mfma_scale_f32_16x16x128_f8f6f4 a[44:47], v[148:151], v[20:23], a[44:47], v208, v200 op_sel_hi:[0,0,0] cbsz:4 blgp:4// 000000003C20: D3AC7800 180391D0 D3AD8C2C 84B22994
	buffer_load_dwordx4 v[196:199], v224, s[16:19], 0 offen offset:1024// 000000003C30: E05C1400 8004C4E0
	s_waitcnt vmcnt(15)                                        // 000000003C38: BF8C0F7F
	s_barrier                                                  // 000000003C3C: BF8A0000
	v_mfma_scale_f32_16x16x128_f8f6f4 a[80:83], v[136:139], v[24:27], a[80:83], v208, v201 op_sel_hi:[0,0,0] cbsz:4 blgp:4// 000000003C40: D3AC6000 000393D0 D3AD8C50 85423188
	ds_read_b128 v[56:59], v216                                // 000000003C50: D9FE0000 380000D8
	v_mfma_scale_f32_16x16x128_f8f6f4 a[84:87], v[136:139], v[28:31], a[84:87], v208, v201 op_sel_hi:[0,0,0] cbsz:4 blgp:4// 000000003C58: D3AC7000 000393D0 D3AD8C54 85523988
	buffer_load_dword v211, v227, s[24:27], 0 offen            // 000000003C68: E0501000 8006D3E3
	v_mfma_scale_f32_16x16x128_f8f6f4 a[88:91], v[140:143], v[24:27], a[88:91], v208, v201 op_sel_hi:[0,0,0] cbsz:4 blgp:4// 000000003C70: D3AC6800 000393D0 D3AD8C58 8562318C
	s_add_u32 s16, s16, s67                                    // 000000003C80: 80104310
	ds_read_b128 v[64:67], v216 offset:64                      // 000000003C84: D9FE0040 400000D8
	v_mfma_scale_f32_16x16x128_f8f6f4 a[92:95], v[140:143], v[28:31], a[92:95], v208, v201 op_sel_hi:[0,0,0] cbsz:4 blgp:4// 000000003C8C: D3AC7800 000393D0 D3AD8C5C 8572398C
	s_addc_u32 s17, 0, s17                                     // 000000003C9C: 82111180
	s_sub_u32 s18, s18, s67                                    // 000000003CA0: 80924312
	v_mfma_scale_f32_16x16x128_f8f6f4 a[80:83], v[144:147], v[32:35], a[80:83], v208, v201 op_sel_hi:[0,0,0] cbsz:4 blgp:4// 000000003CA4: D3AC6000 180393D0 D3AD8C50 85424190
	s_add_u32 s24, s24, s69                                    // 000000003CB4: 80184518
	ds_read_b128 v[60:63], v216 offset:512                     // 000000003CB8: D9FE0200 3C0000D8
	v_mfma_scale_f32_16x16x128_f8f6f4 a[84:87], v[144:147], v[36:39], a[84:87], v208, v201 op_sel_hi:[0,0,0] cbsz:4 blgp:4// 000000003CC0: D3AC7000 180393D0 D3AD8C54 85524990
	s_addc_u32 s25, 0, s25                                     // 000000003CD0: 82191980
	s_sub_u32 s26, s26, s69                                    // 000000003CD4: 809A451A
	v_mfma_scale_f32_16x16x128_f8f6f4 a[88:91], v[148:151], v[32:35], a[88:91], v208, v201 op_sel_hi:[0,0,0] cbsz:4 blgp:4// 000000003CD8: D3AC6800 180393D0 D3AD8C58 85624194
	s_addk_i32 s60, 0x100                                      // 000000003CE8: B73C0100
	ds_read_b128 v[68:71], v216 offset:576                     // 000000003CEC: D9FE0240 440000D8
	v_mfma_scale_f32_16x16x128_f8f6f4 a[92:95], v[148:151], v[36:39], a[92:95], v208, v201 op_sel_hi:[0,0,0] cbsz:4 blgp:4// 000000003CF4: D3AC7800 180393D0 D3AD8C5C 85724994
	s_cmp_lt_i32 s60, s61                                      // 000000003D04: BF043D3C
	ds_read_b32 v203, v218 offset:1024                         // 000000003D08: D86C0400 CB0000DA
	v_mfma_scale_f32_16x16x128_f8f6f4 a[128:131], v[136:139], v[40:43], a[128:131], v208, v202 op_sel_hi:[0,0,0] cbsz:4 blgp:4// 000000003D10: D3AC6000 000395D0 D3AD8C80 86025188
	ds_read_b128 v[72:75], v216 offset:4224                    // 000000003D20: D9FE1080 480000D8
	v_mfma_scale_f32_16x16x128_f8f6f4 a[132:135], v[136:139], v[44:47], a[132:135], v208, v202 op_sel_hi:[0,0,0] cbsz:4 blgp:4// 000000003D28: D3AC7000 000395D0 D3AD8C84 86125988
	v_mfma_scale_f32_16x16x128_f8f6f4 a[136:139], v[140:143], v[40:43], a[136:139], v208, v202 op_sel_hi:[0,0,0] cbsz:4 blgp:4// 000000003D38: D3AC6800 000395D0 D3AD8C88 8622518C
	ds_read_b128 v[80:83], v216 offset:4288                    // 000000003D48: D9FE10C0 500000D8
	v_mfma_scale_f32_16x16x128_f8f6f4 a[140:143], v[140:143], v[44:47], a[140:143], v208, v202 op_sel_hi:[0,0,0] cbsz:4 blgp:4// 000000003D50: D3AC7800 000395D0 D3AD8C8C 8632598C
	v_mfma_scale_f32_16x16x128_f8f6f4 a[128:131], v[144:147], v[48:51], a[128:131], v208, v202 op_sel_hi:[0,0,0] cbsz:4 blgp:4// 000000003D60: D3AC6000 180395D0 D3AD8C80 86026190
	ds_read_b128 v[76:79], v216 offset:4736                    // 000000003D70: D9FE1280 4C0000D8
	v_mfma_scale_f32_16x16x128_f8f6f4 a[132:135], v[144:147], v[52:55], a[132:135], v208, v202 op_sel_hi:[0,0,0] cbsz:4 blgp:4// 000000003D78: D3AC7000 180395D0 D3AD8C84 86126990
	v_mfma_scale_f32_16x16x128_f8f6f4 a[136:139], v[148:151], v[48:51], a[136:139], v208, v202 op_sel_hi:[0,0,0] cbsz:4 blgp:4// 000000003D88: D3AC6800 180395D0 D3AD8C88 86226194
	ds_read_b128 v[84:87], v216 offset:4800                    // 000000003D98: D9FE12C0 540000D8
	v_mfma_scale_f32_16x16x128_f8f6f4 a[140:143], v[148:151], v[52:55], a[140:143], v208, v202 op_sel_hi:[0,0,0] cbsz:4 blgp:4// 000000003DA0: D3AC7800 180395D0 D3AD8C8C 86326994
	ds_read_b32 v204, v218 offset:1280                         // 000000003DB0: D86C0500 CC0000DA
	s_cbranch_scc0 label_0914                                  // 000000003DB8: BF8404A5
	s_waitcnt vmcnt(10) lgkmcnt(5)                             // 000000003DBC: BF8C057A
	s_barrier                                                  // 000000003DC0: BF8A0000
	v_mfma_scale_f32_16x16x128_f8f6f4 a[0:3], v[152:155], v[56:59], a[0:3], v209, v203 op_sel_hi:[0,0,0] cbsz:4 blgp:4// 000000003DC4: D3AC6000 000397D1 D3AD8C00 84027198
	ds_read_b128 v[88:91], v216 offset:8448                    // 000000003DD4: D9FE2100 580000D8
	v_mfma_scale_f32_16x16x128_f8f6f4 a[4:7], v[152:155], v[60:63], a[4:7], v209, v203 op_sel_hi:[0,0,0] cbsz:4 blgp:4// 000000003DDC: D3AC7000 000397D1 D3AD8C04 84127998
	s_add_u32 m0, 0, s65                                       // 000000003DEC: 807C4180
	buffer_load_dword v217, s[20:23], 0 offen lds              // 000000003DF0: E0511000 800500D9
	v_mfma_scale_f32_16x16x128_f8f6f4 a[8:11], v[156:159], v[56:59], a[8:11], v209, v203 op_sel_hi:[0,0,0] cbsz:4 blgp:4// 000000003DF8: D3AC6800 000397D1 D3AD8C08 8422719C
	ds_read_b128 v[96:99], v216 offset:8512                    // 000000003E08: D9FE2140 600000D8
	v_mfma_scale_f32_16x16x128_f8f6f4 a[12:15], v[156:159], v[60:63], a[12:15], v209, v203 op_sel_hi:[0,0,0] cbsz:4 blgp:4// 000000003E10: D3AC7800 000397D1 D3AD8C0C 8432799C
	s_add_u32 m0, 0, s64                                       // 000000003E20: 807C4080
	buffer_load_dwordx4 v212, s[12:15], 0 offen lds            // 000000003E24: E05D1000 800300D4
	v_mfma_scale_f32_16x16x128_f8f6f4 a[0:3], v[160:163], v[64:67], a[0:3], v209, v203 op_sel_hi:[0,0,0] cbsz:4 blgp:4// 000000003E2C: D3AC4000 180397D1 D3AD8C00 840281A0
	ds_read_b128 v[92:95], v216 offset:8960                    // 000000003E3C: D9FE2300 5C0000D8
	v_mfma_scale_f32_16x16x128_f8f6f4 a[4:7], v[160:163], v[68:71], a[4:7], v209, v203 op_sel_hi:[0,0,0] cbsz:4 blgp:4// 000000003E44: D3AC7000 180397D1 D3AD8C04 841289A0
	s_add_u32 m0, 0x1080, s64                                  // 000000003E54: 807C40FF 00001080
	buffer_load_dwordx4 v213, s[12:15], 0 offen lds            // 000000003E5C: E05D1000 800300D5
	v_mfma_scale_f32_16x16x128_f8f6f4 a[8:11], v[164:167], v[64:67], a[8:11], v209, v203 op_sel_hi:[0,0,0] cbsz:4 blgp:4// 000000003E64: D3AC4800 180397D1 D3AD8C08 842281A4
	ds_read_b128 v[100:103], v216 offset:9024                  // 000000003E74: D9FE2340 640000D8
	v_mfma_scale_f32_16x16x128_f8f6f4 a[12:15], v[164:167], v[68:71], a[12:15], v209, v203 op_sel_hi:[0,0,0] cbsz:4 blgp:4// 000000003E7C: D3AC7800 180397D1 D3AD8C0C 843289A4
	buffer_load_dwordx4 v[104:107], v219, s[16:19], 0 offen    // 000000003E8C: E05C1000 800468DB
	ds_read_b32 v205, v218 offset:1536                         // 000000003E94: D86C0600 CD0000DA
	s_waitcnt lgkmcnt(5)                                       // 000000003E9C: BF8CC57F
	v_mfma_scale_f32_16x16x128_f8f6f4 a[48:51], v[152:155], v[72:75], a[48:51], v209, v204 op_sel_hi:[0,0,0] cbsz:4 blgp:4// 000000003EA0: D3AC6000 000399D1 D3AD8C30 84C29198
	v_mfma_scale_f32_16x16x128_f8f6f4 a[52:55], v[152:155], v[76:79], a[52:55], v209, v204 op_sel_hi:[0,0,0] cbsz:4 blgp:4// 000000003EB0: D3AC5000 000399D1 D3AD8C34 84D29998
	buffer_load_dwordx4 v[108:111], v220, s[16:19], 0 offen    // 000000003EC0: E05C1000 80046CDC
	v_mfma_scale_f32_16x16x128_f8f6f4 a[56:59], v[156:159], v[72:75], a[56:59], v209, v204 op_sel_hi:[0,0,0] cbsz:4 blgp:4// 000000003EC8: D3AC6800 000399D1 D3AD8C38 84E2919C
	v_mfma_scale_f32_16x16x128_f8f6f4 a[60:63], v[156:159], v[76:79], a[60:63], v209, v204 op_sel_hi:[0,0,0] cbsz:4 blgp:4// 000000003ED8: D3AC5800 000399D1 D3AD8C3C 84F2999C
	buffer_load_dwordx4 v[112:115], v219, s[16:19], 0 offen offset:1024// 000000003EE8: E05C1400 800470DB
	v_mfma_scale_f32_16x16x128_f8f6f4 a[48:51], v[160:163], v[80:83], a[48:51], v209, v204 op_sel_hi:[0,0,0] cbsz:4 blgp:4// 000000003EF0: D3AC6000 180399D1 D3AD8C30 84C2A1A0
	v_mfma_scale_f32_16x16x128_f8f6f4 a[52:55], v[160:163], v[84:87], a[52:55], v209, v204 op_sel_hi:[0,0,0] cbsz:4 blgp:4// 000000003F00: D3AC7000 180399D1 D3AD8C34 84D2A9A0
	buffer_load_dwordx4 v[116:119], v220, s[16:19], 0 offen offset:1024// 000000003F10: E05C1400 800474DC
	v_mfma_scale_f32_16x16x128_f8f6f4 a[56:59], v[164:167], v[80:83], a[56:59], v209, v204 op_sel_hi:[0,0,0] cbsz:4 blgp:4// 000000003F18: D3AC2800 180399D1 D3AD8C38 84E2A1A4
	v_mfma_scale_f32_16x16x128_f8f6f4 a[60:63], v[164:167], v[84:87], a[60:63], v209, v204 op_sel_hi:[0,0,0] cbsz:4 blgp:4// 000000003F28: D3AC7800 180399D1 D3AD8C3C 84F2A9A4
	buffer_load_dword v206, v225, s[24:27], 0 offen            // 000000003F38: E0501000 8006CEE1
	s_waitcnt lgkmcnt(0)                                       // 000000003F40: BF8CC07F
	v_mfma_scale_f32_16x16x128_f8f6f4 a[96:99], v[152:155], v[88:91], a[96:99], v209, v205 op_sel_hi:[0,0,0] cbsz:4 blgp:4// 000000003F44: D3AC6000 00039BD1 D3AD8C60 8582B198
	v_mfma_scale_f32_16x16x128_f8f6f4 a[100:103], v[152:155], v[92:95], a[100:103], v209, v205 op_sel_hi:[0,0,0] cbsz:4 blgp:4// 000000003F54: D3AC7000 00039BD1 D3AD8C64 8592B998
	v_mfma_scale_f32_16x16x128_f8f6f4 a[104:107], v[156:159], v[88:91], a[104:107], v209, v205 op_sel_hi:[0,0,0] cbsz:4 blgp:4// 000000003F64: D3AC6800 00039BD1 D3AD8C68 85A2B19C
	v_mfma_scale_f32_16x16x128_f8f6f4 a[108:111], v[156:159], v[92:95], a[108:111], v209, v205 op_sel_hi:[0,0,0] cbsz:4 blgp:4// 000000003F74: D3AC7800 00039BD1 D3AD8C6C 85B2B99C
	v_mfma_scale_f32_16x16x128_f8f6f4 a[96:99], v[160:163], v[96:99], a[96:99], v209, v205 op_sel_hi:[0,0,0] cbsz:4 blgp:4// 000000003F84: D3AC6000 18039BD1 D3AD8C60 8582C1A0
	v_mfma_scale_f32_16x16x128_f8f6f4 a[100:103], v[160:163], v[100:103], a[100:103], v209, v205 op_sel_hi:[0,0,0] cbsz:4 blgp:4// 000000003F94: D3AC7000 18039BD1 D3AD8C64 8592C9A0
	v_mfma_scale_f32_16x16x128_f8f6f4 a[104:107], v[164:167], v[96:99], a[104:107], v209, v205 op_sel_hi:[0,0,0] cbsz:4 blgp:4// 000000003FA4: D3AC6800 18039BD1 D3AD8C68 85A2C1A4
	v_mfma_scale_f32_16x16x128_f8f6f4 a[108:111], v[164:167], v[100:103], a[108:111], v209, v205 op_sel_hi:[0,0,0] cbsz:4 blgp:4// 000000003FB4: D3AC7800 18039BD1 D3AD8C6C 85B2C9A4
	s_waitcnt vmcnt(13)                                        // 000000003FC4: BF8C0F7D
	v_mfma_scale_f32_16x16x128_f8f6f4 a[16:19], v[168:171], v[56:59], a[16:19], v210, v203 op_sel_hi:[0,0,0] cbsz:4 blgp:4// 000000003FC8: D3AC6000 000397D2 D3AD8C10 844271A8
	v_mfma_scale_f32_16x16x128_f8f6f4 a[20:23], v[168:171], v[60:63], a[20:23], v210, v203 op_sel_hi:[0,0,0] cbsz:4 blgp:4// 000000003FD8: D3AC7000 000397D2 D3AD8C14 845279A8
	s_add_u32 m0, 0x2100, s64                                  // 000000003FE8: 807C40FF 00002100
	buffer_load_dwordx4 v214, s[12:15], 0 offen lds            // 000000003FF0: E05D1000 800300D6
	v_mfma_scale_f32_16x16x128_f8f6f4 a[24:27], v[172:175], v[56:59], a[24:27], v210, v203 op_sel_hi:[0,0,0] cbsz:4 blgp:4// 000000003FF8: D3AC6800 000397D2 D3AD8C18 846271AC
	s_add_u32 s62, 0x200, s60                                  // 000000004008: 803E3CFF 00000200
	s_cmp_lt_u32 s62, s61                                      // 000000004010: BF0A3D3E
	v_mfma_scale_f32_16x16x128_f8f6f4 a[28:31], v[172:175], v[60:63], a[28:31], v210, v203 op_sel_hi:[0,0,0] cbsz:4 blgp:4// 000000004014: D3AC7800 000397D2 D3AD8C1C 847279AC
	s_cselect_b32 s66, s66, 0                                  // 000000004024: 85428042
	buffer_load_dwordx4 v[120:123], v221, s[16:19], 0 offen    // 000000004028: E05C1000 800478DD
	v_mfma_scale_f32_16x16x128_f8f6f4 a[16:19], v[176:179], v[64:67], a[16:19], v210, v203 op_sel_hi:[0,0,0] cbsz:4 blgp:4// 000000004030: D3AC6000 180397D2 D3AD8C10 844281B0
	s_cselect_b32 s68, s68, 0                                  // 000000004040: 85448044
	s_add_u32 s12, s12, s66                                    // 000000004044: 800C420C
	v_mfma_scale_f32_16x16x128_f8f6f4 a[20:23], v[176:179], v[68:71], a[20:23], v210, v203 op_sel_hi:[0,0,0] cbsz:4 blgp:4// 000000004048: D3AC7000 180397D2 D3AD8C14 845289B0
	s_addc_u32 s13, 0, s13                                     // 000000004058: 820D0D80
	buffer_load_dwordx4 v[124:127], v222, s[16:19], 0 offen    // 00000000405C: E05C1000 80047CDE
	v_mfma_scale_f32_16x16x128_f8f6f4 a[24:27], v[180:183], v[64:67], a[24:27], v210, v203 op_sel_hi:[0,0,0] cbsz:4 blgp:4// 000000004064: D3AC6800 180397D2 D3AD8C18 846281B4
	s_sub_u32 s14, s14, s66                                    // 000000004074: 808E420E
	s_add_u32 s20, s20, s68                                    // 000000004078: 80144414
	v_mfma_scale_f32_16x16x128_f8f6f4 a[28:31], v[180:183], v[68:71], a[28:31], v210, v203 op_sel_hi:[0,0,0] cbsz:4 blgp:4// 00000000407C: D3AC3800 180397D2 D3AD8C1C 847289B4
	s_addc_u32 s21, 0, s21                                     // 00000000408C: 82151580
	buffer_load_dwordx4 v[128:131], v221, s[16:19], 0 offen offset:1024// 000000004090: E05C1400 800480DD
	v_mfma_scale_f32_16x16x128_f8f6f4 a[64:67], v[168:171], v[72:75], a[64:67], v210, v204 op_sel_hi:[0,0,0] cbsz:4 blgp:4// 000000004098: D3AC4000 000399D2 D3AD8C40 850291A8
	s_sub_u32 s22, s22, s68                                    // 0000000040A8: 80964416
	v_mfma_scale_f32_16x16x128_f8f6f4 a[68:71], v[168:171], v[76:79], a[68:71], v210, v204 op_sel_hi:[0,0,0] cbsz:4 blgp:4// 0000000040AC: D3AC7000 000399D2 D3AD8C44 851299A8
	buffer_load_dwordx4 v[132:135], v222, s[16:19], 0 offen offset:1024// 0000000040BC: E05C1400 800484DE
	v_mfma_scale_f32_16x16x128_f8f6f4 a[72:75], v[172:175], v[72:75], a[72:75], v210, v204 op_sel_hi:[0,0,0] cbsz:4 blgp:4// 0000000040C4: D3AC6800 000399D2 D3AD8C48 852291AC
	v_mfma_scale_f32_16x16x128_f8f6f4 a[76:79], v[172:175], v[76:79], a[76:79], v210, v204 op_sel_hi:[0,0,0] cbsz:4 blgp:4// 0000000040D4: D3AC5800 000399D2 D3AD8C4C 853299AC
	buffer_load_dword v207, v226, s[24:27], 0 offen            // 0000000040E4: E0501000 8006CFE2
	v_mfma_scale_f32_16x16x128_f8f6f4 a[64:67], v[176:179], v[80:83], a[64:67], v210, v204 op_sel_hi:[0,0,0] cbsz:4 blgp:4// 0000000040EC: D3AC6000 180399D2 D3AD8C40 8502A1B0
	v_mfma_scale_f32_16x16x128_f8f6f4 a[68:71], v[176:179], v[84:87], a[68:71], v210, v204 op_sel_hi:[0,0,0] cbsz:4 blgp:4// 0000000040FC: D3AC7000 180399D2 D3AD8C44 8512A9B0
	v_mfma_scale_f32_16x16x128_f8f6f4 a[72:75], v[180:183], v[80:83], a[72:75], v210, v204 op_sel_hi:[0,0,0] cbsz:4 blgp:4// 00000000410C: D3AC6800 180399D2 D3AD8C48 8522A1B4
	v_mfma_scale_f32_16x16x128_f8f6f4 a[76:79], v[180:183], v[84:87], a[76:79], v210, v204 op_sel_hi:[0,0,0] cbsz:4 blgp:4// 00000000411C: D3AC7800 180399D2 D3AD8C4C 8532A9B4
	v_mfma_scale_f32_16x16x128_f8f6f4 a[112:115], v[168:171], v[88:91], a[112:115], v210, v205 op_sel_hi:[0,0,0] cbsz:4 blgp:4// 00000000412C: D3AC6000 00039BD2 D3AD8C70 85C2B1A8
	v_mfma_scale_f32_16x16x128_f8f6f4 a[116:119], v[168:171], v[92:95], a[116:119], v210, v205 op_sel_hi:[0,0,0] cbsz:4 blgp:4// 00000000413C: D3AC7000 00039BD2 D3AD8C74 85D2B9A8
	v_mfma_scale_f32_16x16x128_f8f6f4 a[120:123], v[172:175], v[88:91], a[120:123], v210, v205 op_sel_hi:[0,0,0] cbsz:4 blgp:4// 00000000414C: D3AC6800 00039BD2 D3AD8C78 85E2B1AC
	v_mfma_scale_f32_16x16x128_f8f6f4 a[124:127], v[172:175], v[92:95], a[124:127], v210, v205 op_sel_hi:[0,0,0] cbsz:4 blgp:4// 00000000415C: D3AC7800 00039BD2 D3AD8C7C 85F2B9AC
	v_mfma_scale_f32_16x16x128_f8f6f4 a[112:115], v[176:179], v[96:99], a[112:115], v210, v205 op_sel_hi:[0,0,0] cbsz:4 blgp:4// 00000000416C: D3AC6000 18039BD2 D3AD8C70 85C2C1B0
	v_mfma_scale_f32_16x16x128_f8f6f4 a[116:119], v[176:179], v[100:103], a[116:119], v210, v205 op_sel_hi:[0,0,0] cbsz:4 blgp:4// 00000000417C: D3AC7000 18039BD2 D3AD8C74 85D2C9B0
	v_mfma_scale_f32_16x16x128_f8f6f4 a[120:123], v[180:183], v[96:99], a[120:123], v210, v205 op_sel_hi:[0,0,0] cbsz:4 blgp:4// 00000000418C: D3AC6800 18039BD2 D3AD8C78 85E2C1B4
	v_mfma_scale_f32_16x16x128_f8f6f4 a[124:127], v[180:183], v[100:103], a[124:127], v210, v205 op_sel_hi:[0,0,0] cbsz:4 blgp:4// 00000000419C: D3AC7800 18039BD2 D3AD8C7C 85F2C9B4
	s_waitcnt vmcnt(14)                                        // 0000000041AC: BF8C0F7E
	v_mfma_scale_f32_16x16x128_f8f6f4 a[32:35], v[184:187], v[56:59], a[32:35], v211, v203 op_sel_hi:[0,0,0] cbsz:4 blgp:4// 0000000041B0: D3AC6000 000397D3 D3AD8C20 848271B8
	s_add_u32 s63, 0x200, s60                                  // 0000000041C0: 803F3CFF 00000200
	s_cmp_lt_u32 s63, s61                                      // 0000000041C8: BF0A3D3F
	v_mfma_scale_f32_16x16x128_f8f6f4 a[36:39], v[184:187], v[60:63], a[36:39], v211, v203 op_sel_hi:[0,0,0] cbsz:4 blgp:4// 0000000041CC: D3AC7000 000397D3 D3AD8C24 849279B8
	s_cselect_b32 s67, s67, 0                                  // 0000000041DC: 85438043
	buffer_load_dwordx4 v[136:139], v223, s[16:19], 0 offen    // 0000000041E0: E05C1000 800488DF
	v_mfma_scale_f32_16x16x128_f8f6f4 a[40:43], v[188:191], v[56:59], a[40:43], v211, v203 op_sel_hi:[0,0,0] cbsz:4 blgp:4// 0000000041E8: D3AC6800 000397D3 D3AD8C28 84A271BC
	s_cselect_b32 s69, s69, 0                                  // 0000000041F8: 85458045
	v_mfma_scale_f32_16x16x128_f8f6f4 a[44:47], v[188:191], v[60:63], a[44:47], v211, v203 op_sel_hi:[0,0,0] cbsz:4 blgp:4// 0000000041FC: D3AC7800 000397D3 D3AD8C2C 84B279BC
	buffer_load_dwordx4 v[140:143], v224, s[16:19], 0 offen    // 00000000420C: E05C1000 80048CE0
	v_mfma_scale_f32_16x16x128_f8f6f4 a[32:35], v[192:195], v[64:67], a[32:35], v211, v203 op_sel_hi:[0,0,0] cbsz:4 blgp:4// 000000004214: D3AC6000 180397D3 D3AD8C20 848281C0
	v_mfma_scale_f32_16x16x128_f8f6f4 a[36:39], v[192:195], v[68:71], a[36:39], v211, v203 op_sel_hi:[0,0,0] cbsz:4 blgp:4// 000000004224: D3AC7000 180397D3 D3AD8C24 849289C0
	buffer_load_dwordx4 v[144:147], v223, s[16:19], 0 offen offset:1024// 000000004234: E05C1400 800490DF
	v_mfma_scale_f32_16x16x128_f8f6f4 a[40:43], v[196:199], v[64:67], a[40:43], v211, v203 op_sel_hi:[0,0,0] cbsz:4 blgp:4// 00000000423C: D3AC6800 180397D3 D3AD8C28 84A281C4
	v_mfma_scale_f32_16x16x128_f8f6f4 a[44:47], v[196:199], v[68:71], a[44:47], v211, v203 op_sel_hi:[0,0,0] cbsz:4 blgp:4// 00000000424C: D3AC7800 180397D3 D3AD8C2C 84B289C4
	buffer_load_dwordx4 v[148:151], v224, s[16:19], 0 offen offset:1024// 00000000425C: E05C1400 800494E0
	s_waitcnt vmcnt(15)                                        // 000000004264: BF8C0F7F
	s_barrier                                                  // 000000004268: BF8A0000
	v_mfma_scale_f32_16x16x128_f8f6f4 a[80:83], v[184:187], v[72:75], a[80:83], v211, v204 op_sel_hi:[0,0,0] cbsz:4 blgp:4// 00000000426C: D3AC6000 000399D3 D3AD8C50 854291B8
	ds_read_b128 v[8:11], v215                                 // 00000000427C: D9FE0000 080000D7
	v_mfma_scale_f32_16x16x128_f8f6f4 a[84:87], v[184:187], v[76:79], a[84:87], v211, v204 op_sel_hi:[0,0,0] cbsz:4 blgp:4// 000000004284: D3AC7000 000399D3 D3AD8C54 855299B8
	buffer_load_dword v208, v227, s[24:27], 0 offen            // 000000004294: E0501000 8006D0E3
	v_mfma_scale_f32_16x16x128_f8f6f4 a[88:91], v[188:191], v[72:75], a[88:91], v211, v204 op_sel_hi:[0,0,0] cbsz:4 blgp:4// 00000000429C: D3AC6800 000399D3 D3AD8C58 856291BC
	s_add_u32 s16, s16, s67                                    // 0000000042AC: 80104310
	ds_read_b128 v[16:19], v215 offset:64                      // 0000000042B0: D9FE0040 100000D7
	v_mfma_scale_f32_16x16x128_f8f6f4 a[92:95], v[188:191], v[76:79], a[92:95], v211, v204 op_sel_hi:[0,0,0] cbsz:4 blgp:4// 0000000042B8: D3AC7800 000399D3 D3AD8C5C 857299BC
	s_addc_u32 s17, 0, s17                                     // 0000000042C8: 82111180
	s_sub_u32 s18, s18, s67                                    // 0000000042CC: 80924312
	v_mfma_scale_f32_16x16x128_f8f6f4 a[80:83], v[192:195], v[80:83], a[80:83], v211, v204 op_sel_hi:[0,0,0] cbsz:4 blgp:4// 0000000042D0: D3AC6000 180399D3 D3AD8C50 8542A1C0
	s_add_u32 s24, s24, s69                                    // 0000000042E0: 80184518
	ds_read_b128 v[12:15], v215 offset:512                     // 0000000042E4: D9FE0200 0C0000D7
	v_mfma_scale_f32_16x16x128_f8f6f4 a[84:87], v[192:195], v[84:87], a[84:87], v211, v204 op_sel_hi:[0,0,0] cbsz:4 blgp:4// 0000000042EC: D3AC7000 180399D3 D3AD8C54 8552A9C0
	s_addc_u32 s25, 0, s25                                     // 0000000042FC: 82191980
	s_sub_u32 s26, s26, s69                                    // 000000004300: 809A451A
	v_mfma_scale_f32_16x16x128_f8f6f4 a[88:91], v[196:199], v[80:83], a[88:91], v211, v204 op_sel_hi:[0,0,0] cbsz:4 blgp:4// 000000004304: D3AC6800 180399D3 D3AD8C58 8562A1C4
	s_addk_i32 s60, 0x100                                      // 000000004314: B73C0100
	ds_read_b128 v[20:23], v215 offset:576                     // 000000004318: D9FE0240 140000D7
	v_mfma_scale_f32_16x16x128_f8f6f4 a[92:95], v[196:199], v[84:87], a[92:95], v211, v204 op_sel_hi:[0,0,0] cbsz:4 blgp:4// 000000004320: D3AC7800 180399D3 D3AD8C5C 8572A9C4
	s_cmp_lt_i32 s60, s61                                      // 000000004330: BF043D3C
	ds_read_b32 v200, v218                                     // 000000004334: D86C0000 C80000DA
	v_mfma_scale_f32_16x16x128_f8f6f4 a[128:131], v[184:187], v[88:91], a[128:131], v211, v205 op_sel_hi:[0,0,0] cbsz:4 blgp:4// 00000000433C: D3AC6000 00039BD3 D3AD8C80 8602B1B8
	ds_read_b128 v[24:27], v215 offset:4224                    // 00000000434C: D9FE1080 180000D7
	v_mfma_scale_f32_16x16x128_f8f6f4 a[132:135], v[184:187], v[92:95], a[132:135], v211, v205 op_sel_hi:[0,0,0] cbsz:4 blgp:4// 000000004354: D3AC7000 00039BD3 D3AD8C84 8612B9B8
	v_mfma_scale_f32_16x16x128_f8f6f4 a[136:139], v[188:191], v[88:91], a[136:139], v211, v205 op_sel_hi:[0,0,0] cbsz:4 blgp:4// 000000004364: D3AC6800 00039BD3 D3AD8C88 8622B1BC
	ds_read_b128 v[32:35], v215 offset:4288                    // 000000004374: D9FE10C0 200000D7
	v_mfma_scale_f32_16x16x128_f8f6f4 a[140:143], v[188:191], v[92:95], a[140:143], v211, v205 op_sel_hi:[0,0,0] cbsz:4 blgp:4// 00000000437C: D3AC7800 00039BD3 D3AD8C8C 8632B9BC
	v_mfma_scale_f32_16x16x128_f8f6f4 a[128:131], v[192:195], v[96:99], a[128:131], v211, v205 op_sel_hi:[0,0,0] cbsz:4 blgp:4// 00000000438C: D3AC6000 18039BD3 D3AD8C80 8602C1C0
	ds_read_b128 v[28:31], v215 offset:4736                    // 00000000439C: D9FE1280 1C0000D7
	v_mfma_scale_f32_16x16x128_f8f6f4 a[132:135], v[192:195], v[100:103], a[132:135], v211, v205 op_sel_hi:[0,0,0] cbsz:4 blgp:4// 0000000043A4: D3AC7000 18039BD3 D3AD8C84 8612C9C0
	v_mfma_scale_f32_16x16x128_f8f6f4 a[136:139], v[196:199], v[96:99], a[136:139], v211, v205 op_sel_hi:[0,0,0] cbsz:4 blgp:4// 0000000043B4: D3AC6800 18039BD3 D3AD8C88 8622C1C4
	ds_read_b128 v[36:39], v215 offset:4800                    // 0000000043C4: D9FE12C0 240000D7
	v_mfma_scale_f32_16x16x128_f8f6f4 a[140:143], v[196:199], v[100:103], a[140:143], v211, v205 op_sel_hi:[0,0,0] cbsz:4 blgp:4// 0000000043CC: D3AC7800 18039BD3 D3AD8C8C 8632C9C4
	ds_read_b32 v201, v218 offset:256                          // 0000000043DC: D86C0100 C90000DA
	s_cbranch_scc0 label_0914                                  // 0000000043E4: BF84031A
	s_branch label_02E2                                        // 0000000043E8: BF82FCE7

00000000000043ec <label_05FB>:
	s_waitcnt vmcnt(10) lgkmcnt(5)                             // 0000000043EC: BF8C057A
	s_barrier                                                  // 0000000043F0: BF8A0000
	v_mfma_scale_f32_16x16x128_f8f6f4 a[0:3], v[104:107], v[8:11], a[0:3], v206, v200 op_sel_hi:[0,0,0] cbsz:4 blgp:4// 0000000043F4: D3AC6000 000391CE D3AD8C00 84021168
	s_add_u32 m0, 0x400, s65                                   // 000000004404: 807C41FF 00000400
	buffer_load_dword v217, s[20:23], 0 offen lds              // 00000000440C: E0511000 800500D9
	v_mfma_scale_f32_16x16x128_f8f6f4 a[4:7], v[104:107], v[12:15], a[4:7], v206, v200 op_sel_hi:[0,0,0] cbsz:4 blgp:4// 000000004414: D3AC7000 000391CE D3AD8C04 84121968
	ds_read_b128 v[40:43], v215 offset:8448                    // 000000004424: D9FE2100 280000D7
	v_mfma_scale_f32_16x16x128_f8f6f4 a[8:11], v[108:111], v[8:11], a[8:11], v206, v200 op_sel_hi:[0,0,0] cbsz:4 blgp:4// 00000000442C: D3AC6800 000391CE D3AD8C08 8422116C
	s_add_u32 m0, 0x3180, s64                                  // 00000000443C: 807C40FF 00003180
	buffer_load_dwordx4 v212, s[12:15], 0 offen lds            // 000000004444: E05D1000 800300D4
	v_mfma_scale_f32_16x16x128_f8f6f4 a[12:15], v[108:111], v[12:15], a[12:15], v206, v200 op_sel_hi:[0,0,0] cbsz:4 blgp:4// 00000000444C: D3AC7800 000391CE D3AD8C0C 8432196C
	ds_read_b128 v[48:51], v215 offset:8512                    // 00000000445C: D9FE2140 300000D7
	v_mfma_scale_f32_16x16x128_f8f6f4 a[0:3], v[112:115], v[16:19], a[0:3], v206, v200 op_sel_hi:[0,0,0] cbsz:4 blgp:4// 000000004464: D3AC6000 180391CE D3AD8C00 84022170
	s_add_u32 m0, 0x4200, s64                                  // 000000004474: 807C40FF 00004200
	buffer_load_dwordx4 v213, s[12:15], 0 offen lds            // 00000000447C: E05D1000 800300D5
	v_mfma_scale_f32_16x16x128_f8f6f4 a[4:7], v[112:115], v[20:23], a[4:7], v206, v200 op_sel_hi:[0,0,0] cbsz:4 blgp:4// 000000004484: D3AC7000 180391CE D3AD8C04 84122970
	ds_read_b128 v[44:47], v215 offset:8960                    // 000000004494: D9FE2300 2C0000D7
	v_mfma_scale_f32_16x16x128_f8f6f4 a[8:11], v[116:119], v[16:19], a[8:11], v206, v200 op_sel_hi:[0,0,0] cbsz:4 blgp:4// 00000000449C: D3AC6800 180391CE D3AD8C08 84222174
	buffer_load_dwordx4 v[152:155], v219, s[16:19], 0 offen    // 0000000044AC: E05C1000 800498DB
	v_mfma_scale_f32_16x16x128_f8f6f4 a[12:15], v[116:119], v[20:23], a[12:15], v206, v200 op_sel_hi:[0,0,0] cbsz:4 blgp:4// 0000000044B4: D3AC7800 180391CE D3AD8C0C 84322974
	ds_read_b128 v[52:55], v215 offset:9024                    // 0000000044C4: D9FE2340 340000D7
	ds_read_b32 v202, v218 offset:512                          // 0000000044CC: D86C0200 CA0000DA
	s_waitcnt lgkmcnt(5)                                       // 0000000044D4: BF8CC57F
	v_mfma_scale_f32_16x16x128_f8f6f4 a[48:51], v[104:107], v[24:27], a[48:51], v206, v201 op_sel_hi:[0,0,0] cbsz:4 blgp:4// 0000000044D8: D3AC6000 000393CE D3AD8C30 84C23168
	buffer_load_dwordx4 v[156:159], v220, s[16:19], 0 offen    // 0000000044E8: E05C1000 80049CDC
	v_mfma_scale_f32_16x16x128_f8f6f4 a[52:55], v[104:107], v[28:31], a[52:55], v206, v201 op_sel_hi:[0,0,0] cbsz:4 blgp:4// 0000000044F0: D3AC7000 000393CE D3AD8C34 84D23968
	v_mfma_scale_f32_16x16x128_f8f6f4 a[56:59], v[108:111], v[24:27], a[56:59], v206, v201 op_sel_hi:[0,0,0] cbsz:4 blgp:4// 000000004500: D3AC6800 000393CE D3AD8C38 84E2316C
	buffer_load_dwordx4 v[160:163], v219, s[16:19], 0 offen offset:1024// 000000004510: E05C1400 8004A0DB
	v_mfma_scale_f32_16x16x128_f8f6f4 a[60:63], v[108:111], v[28:31], a[60:63], v206, v201 op_sel_hi:[0,0,0] cbsz:4 blgp:4// 000000004518: D3AC7800 000393CE D3AD8C3C 84F2396C
	v_mfma_scale_f32_16x16x128_f8f6f4 a[48:51], v[112:115], v[32:35], a[48:51], v206, v201 op_sel_hi:[0,0,0] cbsz:4 blgp:4// 000000004528: D3AC6000 180393CE D3AD8C30 84C24170
	buffer_load_dwordx4 v[164:167], v220, s[16:19], 0 offen offset:1024// 000000004538: E05C1400 8004A4DC
	v_mfma_scale_f32_16x16x128_f8f6f4 a[52:55], v[112:115], v[36:39], a[52:55], v206, v201 op_sel_hi:[0,0,0] cbsz:4 blgp:4// 000000004540: D3AC7000 180393CE D3AD8C34 84D24970
	v_mfma_scale_f32_16x16x128_f8f6f4 a[56:59], v[116:119], v[32:35], a[56:59], v206, v201 op_sel_hi:[0,0,0] cbsz:4 blgp:4// 000000004550: D3AC6800 180393CE D3AD8C38 84E24174
	buffer_load_dword v209, v225, s[24:27], 0 offen            // 000000004560: E0501000 8006D1E1
	v_mfma_scale_f32_16x16x128_f8f6f4 a[60:63], v[116:119], v[36:39], a[60:63], v206, v201 op_sel_hi:[0,0,0] cbsz:4 blgp:4// 000000004568: D3AC7800 180393CE D3AD8C3C 84F24974
	s_waitcnt lgkmcnt(0)                                       // 000000004578: BF8CC07F
	v_mfma_scale_f32_16x16x128_f8f6f4 a[96:99], v[104:107], v[40:43], a[96:99], v206, v202 op_sel_hi:[0,0,0] cbsz:4 blgp:4// 00000000457C: D3AC6000 000395CE D3AD8C60 85825168
	v_mfma_scale_f32_16x16x128_f8f6f4 a[100:103], v[104:107], v[44:47], a[100:103], v206, v202 op_sel_hi:[0,0,0] cbsz:4 blgp:4// 00000000458C: D3AC7000 000395CE D3AD8C64 85925968
	v_mfma_scale_f32_16x16x128_f8f6f4 a[104:107], v[108:111], v[40:43], a[104:107], v206, v202 op_sel_hi:[0,0,0] cbsz:4 blgp:4// 00000000459C: D3AC6800 000395CE D3AD8C68 85A2516C
	v_mfma_scale_f32_16x16x128_f8f6f4 a[108:111], v[108:111], v[44:47], a[108:111], v206, v202 op_sel_hi:[0,0,0] cbsz:4 blgp:4// 0000000045AC: D3AC7800 000395CE D3AD8C6C 85B2596C
	v_mfma_scale_f32_16x16x128_f8f6f4 a[96:99], v[112:115], v[48:51], a[96:99], v206, v202 op_sel_hi:[0,0,0] cbsz:4 blgp:4// 0000000045BC: D3AC6000 180395CE D3AD8C60 85826170
	v_mfma_scale_f32_16x16x128_f8f6f4 a[100:103], v[112:115], v[52:55], a[100:103], v206, v202 op_sel_hi:[0,0,0] cbsz:4 blgp:4// 0000000045CC: D3AC7000 180395CE D3AD8C64 85926970
	v_mfma_scale_f32_16x16x128_f8f6f4 a[104:107], v[116:119], v[48:51], a[104:107], v206, v202 op_sel_hi:[0,0,0] cbsz:4 blgp:4// 0000000045DC: D3AC6800 180395CE D3AD8C68 85A26174
	v_mfma_scale_f32_16x16x128_f8f6f4 a[108:111], v[116:119], v[52:55], a[108:111], v206, v202 op_sel_hi:[0,0,0] cbsz:4 blgp:4// 0000000045EC: D3AC7800 180395CE D3AD8C6C 85B26974
	s_waitcnt vmcnt(13)                                        // 0000000045FC: BF8C0F7D
	v_mfma_scale_f32_16x16x128_f8f6f4 a[16:19], v[120:123], v[8:11], a[16:19], v207, v200 op_sel_hi:[0,0,0] cbsz:4 blgp:4// 000000004600: D3AC6000 000391CF D3AD8C10 84421178
	s_add_u32 m0, 0x5280, s64                                  // 000000004610: 807C40FF 00005280
	buffer_load_dwordx4 v214, s[12:15], 0 offen lds            // 000000004618: E05D1000 800300D6
	v_mfma_scale_f32_16x16x128_f8f6f4 a[20:23], v[120:123], v[12:15], a[20:23], v207, v200 op_sel_hi:[0,0,0] cbsz:4 blgp:4// 000000004620: D3AC7000 000391CF D3AD8C14 84521978
	s_add_u32 s62, 0x200, s60                                  // 000000004630: 803E3CFF 00000200
	s_cmp_lt_u32 s62, s61                                      // 000000004638: BF0A3D3E
	v_mfma_scale_f32_16x16x128_f8f6f4 a[24:27], v[124:127], v[8:11], a[24:27], v207, v200 op_sel_hi:[0,0,0] cbsz:4 blgp:4// 00000000463C: D3AC0800 000391CF D3AD8C18 8462117C
	s_cselect_b32 s66, s66, 0                                  // 00000000464C: 85428042
	buffer_load_dwordx4 v[168:171], v221, s[16:19], 0 offen    // 000000004650: E05C1000 8004A8DD
	v_mfma_scale_f32_16x16x128_f8f6f4 a[28:31], v[124:127], v[12:15], a[28:31], v207, v200 op_sel_hi:[0,0,0] cbsz:4 blgp:4// 000000004658: D3AC1800 000391CF D3AD8C1C 8472197C
	s_cselect_b32 s68, s68, 0                                  // 000000004668: 85448044
	s_add_u32 s12, s12, s66                                    // 00000000466C: 800C420C
	v_mfma_scale_f32_16x16x128_f8f6f4 a[16:19], v[128:131], v[16:19], a[16:19], v207, v200 op_sel_hi:[0,0,0] cbsz:4 blgp:4// 000000004670: D3AC6000 180391CF D3AD8C10 84422180
	s_addc_u32 s13, 0, s13                                     // 000000004680: 820D0D80
	buffer_load_dwordx4 v[172:175], v222, s[16:19], 0 offen    // 000000004684: E05C1000 8004ACDE
	v_mfma_scale_f32_16x16x128_f8f6f4 a[20:23], v[128:131], v[20:23], a[20:23], v207, v200 op_sel_hi:[0,0,0] cbsz:4 blgp:4// 00000000468C: D3AC7000 180391CF D3AD8C14 84522980
	s_sub_u32 s14, s14, s66                                    // 00000000469C: 808E420E
	s_add_u32 s20, s20, s68                                    // 0000000046A0: 80144414
	v_mfma_scale_f32_16x16x128_f8f6f4 a[24:27], v[132:135], v[16:19], a[24:27], v207, v200 op_sel_hi:[0,0,0] cbsz:4 blgp:4// 0000000046A4: D3AC6800 180391CF D3AD8C18 84622184
	s_addc_u32 s21, 0, s21                                     // 0000000046B4: 82151580
	buffer_load_dwordx4 v[176:179], v221, s[16:19], 0 offen offset:1024// 0000000046B8: E05C1400 8004B0DD
	v_mfma_scale_f32_16x16x128_f8f6f4 a[28:31], v[132:135], v[20:23], a[28:31], v207, v200 op_sel_hi:[0,0,0] cbsz:4 blgp:4// 0000000046C0: D3AC7800 180391CF D3AD8C1C 84722984
	s_sub_u32 s22, s22, s68                                    // 0000000046D0: 80964416
	v_mfma_scale_f32_16x16x128_f8f6f4 a[64:67], v[120:123], v[24:27], a[64:67], v207, v201 op_sel_hi:[0,0,0] cbsz:4 blgp:4// 0000000046D4: D3AC6000 000393CF D3AD8C40 85023178
	buffer_load_dwordx4 v[180:183], v222, s[16:19], 0 offen offset:1024// 0000000046E4: E05C1400 8004B4DE
	v_mfma_scale_f32_16x16x128_f8f6f4 a[68:71], v[120:123], v[28:31], a[68:71], v207, v201 op_sel_hi:[0,0,0] cbsz:4 blgp:4// 0000000046EC: D3AC7000 000393CF D3AD8C44 85123978
	v_mfma_scale_f32_16x16x128_f8f6f4 a[72:75], v[124:127], v[24:27], a[72:75], v207, v201 op_sel_hi:[0,0,0] cbsz:4 blgp:4// 0000000046FC: D3AC6800 000393CF D3AD8C48 8522317C
	buffer_load_dword v210, v226, s[24:27], 0 offen            // 00000000470C: E0501000 8006D2E2
	v_mfma_scale_f32_16x16x128_f8f6f4 a[76:79], v[124:127], v[28:31], a[76:79], v207, v201 op_sel_hi:[0,0,0] cbsz:4 blgp:4// 000000004714: D3AC7800 000393CF D3AD8C4C 8532397C
	v_mfma_scale_f32_16x16x128_f8f6f4 a[64:67], v[128:131], v[32:35], a[64:67], v207, v201 op_sel_hi:[0,0,0] cbsz:4 blgp:4// 000000004724: D3AC6000 180393CF D3AD8C40 85024180
	v_mfma_scale_f32_16x16x128_f8f6f4 a[68:71], v[128:131], v[36:39], a[68:71], v207, v201 op_sel_hi:[0,0,0] cbsz:4 blgp:4// 000000004734: D3AC7000 180393CF D3AD8C44 85124980
	v_mfma_scale_f32_16x16x128_f8f6f4 a[72:75], v[132:135], v[32:35], a[72:75], v207, v201 op_sel_hi:[0,0,0] cbsz:4 blgp:4// 000000004744: D3AC6800 180393CF D3AD8C48 85224184
	v_mfma_scale_f32_16x16x128_f8f6f4 a[76:79], v[132:135], v[36:39], a[76:79], v207, v201 op_sel_hi:[0,0,0] cbsz:4 blgp:4// 000000004754: D3AC7800 180393CF D3AD8C4C 85324984
	v_mfma_scale_f32_16x16x128_f8f6f4 a[112:115], v[120:123], v[40:43], a[112:115], v207, v202 op_sel_hi:[0,0,0] cbsz:4 blgp:4// 000000004764: D3AC6000 000395CF D3AD8C70 85C25178
	v_mfma_scale_f32_16x16x128_f8f6f4 a[116:119], v[120:123], v[44:47], a[116:119], v207, v202 op_sel_hi:[0,0,0] cbsz:4 blgp:4// 000000004774: D3AC7000 000395CF D3AD8C74 85D25978
	v_mfma_scale_f32_16x16x128_f8f6f4 a[120:123], v[124:127], v[40:43], a[120:123], v207, v202 op_sel_hi:[0,0,0] cbsz:4 blgp:4// 000000004784: D3AC6800 000395CF D3AD8C78 85E2517C
	v_mfma_scale_f32_16x16x128_f8f6f4 a[124:127], v[124:127], v[44:47], a[124:127], v207, v202 op_sel_hi:[0,0,0] cbsz:4 blgp:4// 000000004794: D3AC7800 000395CF D3AD8C7C 85F2597C
	v_mfma_scale_f32_16x16x128_f8f6f4 a[112:115], v[128:131], v[48:51], a[112:115], v207, v202 op_sel_hi:[0,0,0] cbsz:4 blgp:4// 0000000047A4: D3AC6000 180395CF D3AD8C70 85C26180
	v_mfma_scale_f32_16x16x128_f8f6f4 a[116:119], v[128:131], v[52:55], a[116:119], v207, v202 op_sel_hi:[0,0,0] cbsz:4 blgp:4// 0000000047B4: D3AC7000 180395CF D3AD8C74 85D26980
	v_mfma_scale_f32_16x16x128_f8f6f4 a[120:123], v[132:135], v[48:51], a[120:123], v207, v202 op_sel_hi:[0,0,0] cbsz:4 blgp:4// 0000000047C4: D3AC6800 180395CF D3AD8C78 85E26184
	v_mfma_scale_f32_16x16x128_f8f6f4 a[124:127], v[132:135], v[52:55], a[124:127], v207, v202 op_sel_hi:[0,0,0] cbsz:4 blgp:4// 0000000047D4: D3AC7800 180395CF D3AD8C7C 85F26984
	s_waitcnt vmcnt(14)                                        // 0000000047E4: BF8C0F7E
	v_mfma_scale_f32_16x16x128_f8f6f4 a[32:35], v[136:139], v[8:11], a[32:35], v208, v200 op_sel_hi:[0,0,0] cbsz:4 blgp:4// 0000000047E8: D3AC6000 000391D0 D3AD8C20 84821188
	s_add_u32 s63, 0x200, s60                                  // 0000000047F8: 803F3CFF 00000200
	buffer_load_dwordx4 v[184:187], v223, s[16:19], 0 offen    // 000000004800: E05C1000 8004B8DF
	v_mfma_scale_f32_16x16x128_f8f6f4 a[36:39], v[136:139], v[12:15], a[36:39], v208, v200 op_sel_hi:[0,0,0] cbsz:4 blgp:4// 000000004808: D3AC7000 000391D0 D3AD8C24 84921988
	s_cmp_lt_u32 s63, s61                                      // 000000004818: BF0A3D3F
	s_cselect_b32 s67, s67, 0                                  // 00000000481C: 85438043
	v_mfma_scale_f32_16x16x128_f8f6f4 a[40:43], v[140:143], v[8:11], a[40:43], v208, v200 op_sel_hi:[0,0,0] cbsz:4 blgp:4// 000000004820: D3AC6800 000391D0 D3AD8C28 84A2118C
	s_cselect_b32 s69, s69, 0                                  // 000000004830: 85458045
	buffer_load_dwordx4 v[188:191], v224, s[16:19], 0 offen    // 000000004834: E05C1000 8004BCE0
	v_mfma_scale_f32_16x16x128_f8f6f4 a[44:47], v[140:143], v[12:15], a[44:47], v208, v200 op_sel_hi:[0,0,0] cbsz:4 blgp:4// 00000000483C: D3AC7800 000391D0 D3AD8C2C 84B2198C
	v_mfma_scale_f32_16x16x128_f8f6f4 a[32:35], v[144:147], v[16:19], a[32:35], v208, v200 op_sel_hi:[0,0,0] cbsz:4 blgp:4// 00000000484C: D3AC6000 180391D0 D3AD8C20 84822190
	buffer_load_dwordx4 v[192:195], v223, s[16:19], 0 offen offset:1024// 00000000485C: E05C1400 8004C0DF
	v_mfma_scale_f32_16x16x128_f8f6f4 a[36:39], v[144:147], v[20:23], a[36:39], v208, v200 op_sel_hi:[0,0,0] cbsz:4 blgp:4// 000000004864: D3AC7000 180391D0 D3AD8C24 84922990
	v_mfma_scale_f32_16x16x128_f8f6f4 a[40:43], v[148:151], v[16:19], a[40:43], v208, v200 op_sel_hi:[0,0,0] cbsz:4 blgp:4// 000000004874: D3AC6800 180391D0 D3AD8C28 84A22194
	buffer_load_dwordx4 v[196:199], v224, s[16:19], 0 offen offset:1024// 000000004884: E05C1400 8004C4E0
	v_mfma_scale_f32_16x16x128_f8f6f4 a[44:47], v[148:151], v[20:23], a[44:47], v208, v200 op_sel_hi:[0,0,0] cbsz:4 blgp:4// 00000000488C: D3AC7800 180391D0 D3AD8C2C 84B22994
	s_waitcnt vmcnt(15)                                        // 00000000489C: BF8C0F7F
	s_barrier                                                  // 0000000048A0: BF8A0000
	v_mfma_scale_f32_16x16x128_f8f6f4 a[80:83], v[136:139], v[24:27], a[80:83], v208, v201 op_sel_hi:[0,0,0] cbsz:4 blgp:4// 0000000048A4: D3AC6000 000393D0 D3AD8C50 85423188
	buffer_load_dword v211, v227, s[24:27], 0 offen            // 0000000048B4: E0501000 8006D3E3
	v_mfma_scale_f32_16x16x128_f8f6f4 a[84:87], v[136:139], v[28:31], a[84:87], v208, v201 op_sel_hi:[0,0,0] cbsz:4 blgp:4// 0000000048BC: D3AC7000 000393D0 D3AD8C54 85523988
	s_add_u32 s16, s16, s67                                    // 0000000048CC: 80104310
	ds_read_b128 v[56:59], v216                                // 0000000048D0: D9FE0000 380000D8
	v_mfma_scale_f32_16x16x128_f8f6f4 a[88:91], v[140:143], v[24:27], a[88:91], v208, v201 op_sel_hi:[0,0,0] cbsz:4 blgp:4// 0000000048D8: D3AC6800 000393D0 D3AD8C58 8562318C
	s_addc_u32 s17, 0, s17                                     // 0000000048E8: 82111180
	s_sub_u32 s18, s18, s67                                    // 0000000048EC: 80924312
	v_mfma_scale_f32_16x16x128_f8f6f4 a[92:95], v[140:143], v[28:31], a[92:95], v208, v201 op_sel_hi:[0,0,0] cbsz:4 blgp:4// 0000000048F0: D3AC7800 000393D0 D3AD8C5C 8572398C
	s_add_u32 s24, s24, s69                                    // 000000004900: 80184518
	ds_read_b128 v[64:67], v216 offset:64                      // 000000004904: D9FE0040 400000D8
	v_mfma_scale_f32_16x16x128_f8f6f4 a[80:83], v[144:147], v[32:35], a[80:83], v208, v201 op_sel_hi:[0,0,0] cbsz:4 blgp:4// 00000000490C: D3AC6000 180393D0 D3AD8C50 85424190
	s_addc_u32 s25, 0, s25                                     // 00000000491C: 82191980
	s_sub_u32 s26, s26, s69                                    // 000000004920: 809A451A
	v_mfma_scale_f32_16x16x128_f8f6f4 a[84:87], v[144:147], v[36:39], a[84:87], v208, v201 op_sel_hi:[0,0,0] cbsz:4 blgp:4// 000000004924: D3AC7000 180393D0 D3AD8C54 85524990
	s_addk_i32 s60, 0x100                                      // 000000004934: B73C0100
	ds_read_b128 v[60:63], v216 offset:512                     // 000000004938: D9FE0200 3C0000D8
	v_mfma_scale_f32_16x16x128_f8f6f4 a[88:91], v[148:151], v[32:35], a[88:91], v208, v201 op_sel_hi:[0,0,0] cbsz:4 blgp:4// 000000004940: D3AC6800 180393D0 D3AD8C58 85624194
	s_cmp_lt_i32 s60, s61                                      // 000000004950: BF043D3C
	v_mfma_scale_f32_16x16x128_f8f6f4 a[92:95], v[148:151], v[36:39], a[92:95], v208, v201 op_sel_hi:[0,0,0] cbsz:4 blgp:4// 000000004954: D3AC7800 180393D0 D3AD8C5C 85724994
	ds_read_b128 v[68:71], v216 offset:576                     // 000000004964: D9FE0240 440000D8
	ds_read_b32 v203, v218 offset:1024                         // 00000000496C: D86C0400 CB0000DA
	v_mfma_scale_f32_16x16x128_f8f6f4 a[128:131], v[136:139], v[40:43], a[128:131], v208, v202 op_sel_hi:[0,0,0] cbsz:4 blgp:4// 000000004974: D3AC6000 000395D0 D3AD8C80 86025188
	v_mfma_scale_f32_16x16x128_f8f6f4 a[132:135], v[136:139], v[44:47], a[132:135], v208, v202 op_sel_hi:[0,0,0] cbsz:4 blgp:4// 000000004984: D3AC7000 000395D0 D3AD8C84 86125988
	ds_read_b128 v[72:75], v216 offset:4224                    // 000000004994: D9FE1080 480000D8
	v_mfma_scale_f32_16x16x128_f8f6f4 a[136:139], v[140:143], v[40:43], a[136:139], v208, v202 op_sel_hi:[0,0,0] cbsz:4 blgp:4// 00000000499C: D3AC6800 000395D0 D3AD8C88 8622518C
	v_mfma_scale_f32_16x16x128_f8f6f4 a[140:143], v[140:143], v[44:47], a[140:143], v208, v202 op_sel_hi:[0,0,0] cbsz:4 blgp:4// 0000000049AC: D3AC7800 000395D0 D3AD8C8C 8632598C
	ds_read_b128 v[80:83], v216 offset:4288                    // 0000000049BC: D9FE10C0 500000D8
	v_mfma_scale_f32_16x16x128_f8f6f4 a[128:131], v[144:147], v[48:51], a[128:131], v208, v202 op_sel_hi:[0,0,0] cbsz:4 blgp:4// 0000000049C4: D3AC6000 180395D0 D3AD8C80 86026190
	v_mfma_scale_f32_16x16x128_f8f6f4 a[132:135], v[144:147], v[52:55], a[132:135], v208, v202 op_sel_hi:[0,0,0] cbsz:4 blgp:4// 0000000049D4: D3AC7000 180395D0 D3AD8C84 86126990
	ds_read_b128 v[76:79], v216 offset:4736                    // 0000000049E4: D9FE1280 4C0000D8
	v_mfma_scale_f32_16x16x128_f8f6f4 a[136:139], v[148:151], v[48:51], a[136:139], v208, v202 op_sel_hi:[0,0,0] cbsz:4 blgp:4// 0000000049EC: D3AC6800 180395D0 D3AD8C88 86226194
	v_mfma_scale_f32_16x16x128_f8f6f4 a[140:143], v[148:151], v[52:55], a[140:143], v208, v202 op_sel_hi:[0,0,0] cbsz:4 blgp:4// 0000000049FC: D3AC7800 180395D0 D3AD8C8C 86326994
	ds_read_b128 v[84:87], v216 offset:4800                    // 000000004A0C: D9FE12C0 540000D8
	ds_read_b32 v204, v218 offset:1280                         // 000000004A14: D86C0500 CC0000DA
	s_cbranch_scc0 label_0914                                  // 000000004A1C: BF84018C
	s_waitcnt vmcnt(10) lgkmcnt(5)                             // 000000004A20: BF8C057A
	s_barrier                                                  // 000000004A24: BF8A0000
	v_mfma_scale_f32_16x16x128_f8f6f4 a[0:3], v[152:155], v[56:59], a[0:3], v209, v203 op_sel_hi:[0,0,0] cbsz:4 blgp:4// 000000004A28: D3AC6000 000397D1 D3AD8C00 84027198
	s_add_u32 m0, 0, s65                                       // 000000004A38: 807C4180
	buffer_load_dword v217, s[20:23], 0 offen lds              // 000000004A3C: E0511000 800500D9
	v_mfma_scale_f32_16x16x128_f8f6f4 a[4:7], v[152:155], v[60:63], a[4:7], v209, v203 op_sel_hi:[0,0,0] cbsz:4 blgp:4// 000000004A44: D3AC7000 000397D1 D3AD8C04 84127998
	ds_read_b128 v[88:91], v216 offset:8448                    // 000000004A54: D9FE2100 580000D8
	v_mfma_scale_f32_16x16x128_f8f6f4 a[8:11], v[156:159], v[56:59], a[8:11], v209, v203 op_sel_hi:[0,0,0] cbsz:4 blgp:4// 000000004A5C: D3AC6800 000397D1 D3AD8C08 8422719C
	s_add_u32 m0, 0, s64                                       // 000000004A6C: 807C4080
	buffer_load_dwordx4 v212, s[12:15], 0 offen lds            // 000000004A70: E05D1000 800300D4
	v_mfma_scale_f32_16x16x128_f8f6f4 a[12:15], v[156:159], v[60:63], a[12:15], v209, v203 op_sel_hi:[0,0,0] cbsz:4 blgp:4// 000000004A78: D3AC7800 000397D1 D3AD8C0C 8432799C
	ds_read_b128 v[96:99], v216 offset:8512                    // 000000004A88: D9FE2140 600000D8
	v_mfma_scale_f32_16x16x128_f8f6f4 a[0:3], v[160:163], v[64:67], a[0:3], v209, v203 op_sel_hi:[0,0,0] cbsz:4 blgp:4// 000000004A90: D3AC6000 180397D1 D3AD8C00 840281A0
	s_add_u32 m0, 0x1080, s64                                  // 000000004AA0: 807C40FF 00001080
	buffer_load_dwordx4 v213, s[12:15], 0 offen lds            // 000000004AA8: E05D1000 800300D5
	v_mfma_scale_f32_16x16x128_f8f6f4 a[4:7], v[160:163], v[68:71], a[4:7], v209, v203 op_sel_hi:[0,0,0] cbsz:4 blgp:4// 000000004AB0: D3AC7000 180397D1 D3AD8C04 841289A0
	ds_read_b128 v[92:95], v216 offset:8960                    // 000000004AC0: D9FE2300 5C0000D8
	v_mfma_scale_f32_16x16x128_f8f6f4 a[8:11], v[164:167], v[64:67], a[8:11], v209, v203 op_sel_hi:[0,0,0] cbsz:4 blgp:4// 000000004AC8: D3AC6800 180397D1 D3AD8C08 842281A4
	buffer_load_dwordx4 v[104:107], v219, s[16:19], 0 offen    // 000000004AD8: E05C1000 800468DB
	v_mfma_scale_f32_16x16x128_f8f6f4 a[12:15], v[164:167], v[68:71], a[12:15], v209, v203 op_sel_hi:[0,0,0] cbsz:4 blgp:4// 000000004AE0: D3AC7800 180397D1 D3AD8C0C 843289A4
	ds_read_b128 v[100:103], v216 offset:9024                  // 000000004AF0: D9FE2340 640000D8
	ds_read_b32 v205, v218 offset:1536                         // 000000004AF8: D86C0600 CD0000DA
	s_waitcnt lgkmcnt(5)                                       // 000000004B00: BF8CC57F
	v_mfma_scale_f32_16x16x128_f8f6f4 a[48:51], v[152:155], v[72:75], a[48:51], v209, v204 op_sel_hi:[0,0,0] cbsz:4 blgp:4// 000000004B04: D3AC6000 000399D1 D3AD8C30 84C29198
	buffer_load_dwordx4 v[108:111], v220, s[16:19], 0 offen    // 000000004B14: E05C1000 80046CDC
	v_mfma_scale_f32_16x16x128_f8f6f4 a[52:55], v[152:155], v[76:79], a[52:55], v209, v204 op_sel_hi:[0,0,0] cbsz:4 blgp:4// 000000004B1C: D3AC7000 000399D1 D3AD8C34 84D29998
	v_mfma_scale_f32_16x16x128_f8f6f4 a[56:59], v[156:159], v[72:75], a[56:59], v209, v204 op_sel_hi:[0,0,0] cbsz:4 blgp:4// 000000004B2C: D3AC6800 000399D1 D3AD8C38 84E2919C
	buffer_load_dwordx4 v[112:115], v219, s[16:19], 0 offen offset:1024// 000000004B3C: E05C1400 800470DB
	v_mfma_scale_f32_16x16x128_f8f6f4 a[60:63], v[156:159], v[76:79], a[60:63], v209, v204 op_sel_hi:[0,0,0] cbsz:4 blgp:4// 000000004B44: D3AC7800 000399D1 D3AD8C3C 84F2999C
	v_mfma_scale_f32_16x16x128_f8f6f4 a[48:51], v[160:163], v[80:83], a[48:51], v209, v204 op_sel_hi:[0,0,0] cbsz:4 blgp:4// 000000004B54: D3AC6000 180399D1 D3AD8C30 84C2A1A0
	buffer_load_dwordx4 v[116:119], v220, s[16:19], 0 offen offset:1024// 000000004B64: E05C1400 800474DC
	v_mfma_scale_f32_16x16x128_f8f6f4 a[52:55], v[160:163], v[84:87], a[52:55], v209, v204 op_sel_hi:[0,0,0] cbsz:4 blgp:4// 000000004B6C: D3AC7000 180399D1 D3AD8C34 84D2A9A0
	v_mfma_scale_f32_16x16x128_f8f6f4 a[56:59], v[164:167], v[80:83], a[56:59], v209, v204 op_sel_hi:[0,0,0] cbsz:4 blgp:4// 000000004B7C: D3AC6800 180399D1 D3AD8C38 84E2A1A4
	buffer_load_dword v206, v225, s[24:27], 0 offen            // 000000004B8C: E0501000 8006CEE1
	v_mfma_scale_f32_16x16x128_f8f6f4 a[60:63], v[164:167], v[84:87], a[60:63], v209, v204 op_sel_hi:[0,0,0] cbsz:4 blgp:4// 000000004B94: D3AC7800 180399D1 D3AD8C3C 84F2A9A4
	s_waitcnt lgkmcnt(0)                                       // 000000004BA4: BF8CC07F
	v_mfma_scale_f32_16x16x128_f8f6f4 a[96:99], v[152:155], v[88:91], a[96:99], v209, v205 op_sel_hi:[0,0,0] cbsz:4 blgp:4// 000000004BA8: D3AC6000 00039BD1 D3AD8C60 8582B198
	v_mfma_scale_f32_16x16x128_f8f6f4 a[100:103], v[152:155], v[92:95], a[100:103], v209, v205 op_sel_hi:[0,0,0] cbsz:4 blgp:4// 000000004BB8: D3AC7000 00039BD1 D3AD8C64 8592B998
	v_mfma_scale_f32_16x16x128_f8f6f4 a[104:107], v[156:159], v[88:91], a[104:107], v209, v205 op_sel_hi:[0,0,0] cbsz:4 blgp:4// 000000004BC8: D3AC6800 00039BD1 D3AD8C68 85A2B19C
	v_mfma_scale_f32_16x16x128_f8f6f4 a[108:111], v[156:159], v[92:95], a[108:111], v209, v205 op_sel_hi:[0,0,0] cbsz:4 blgp:4// 000000004BD8: D3AC7800 00039BD1 D3AD8C6C 85B2B99C
	v_mfma_scale_f32_16x16x128_f8f6f4 a[96:99], v[160:163], v[96:99], a[96:99], v209, v205 op_sel_hi:[0,0,0] cbsz:4 blgp:4// 000000004BE8: D3AC6000 18039BD1 D3AD8C60 8582C1A0
	v_mfma_scale_f32_16x16x128_f8f6f4 a[100:103], v[160:163], v[100:103], a[100:103], v209, v205 op_sel_hi:[0,0,0] cbsz:4 blgp:4// 000000004BF8: D3AC7000 18039BD1 D3AD8C64 8592C9A0
	v_mfma_scale_f32_16x16x128_f8f6f4 a[104:107], v[164:167], v[96:99], a[104:107], v209, v205 op_sel_hi:[0,0,0] cbsz:4 blgp:4// 000000004C08: D3AC6800 18039BD1 D3AD8C68 85A2C1A4
	v_mfma_scale_f32_16x16x128_f8f6f4 a[108:111], v[164:167], v[100:103], a[108:111], v209, v205 op_sel_hi:[0,0,0] cbsz:4 blgp:4// 000000004C18: D3AC7800 18039BD1 D3AD8C6C 85B2C9A4
	s_waitcnt vmcnt(13)                                        // 000000004C28: BF8C0F7D
	v_mfma_scale_f32_16x16x128_f8f6f4 a[16:19], v[168:171], v[56:59], a[16:19], v210, v203 op_sel_hi:[0,0,0] cbsz:4 blgp:4// 000000004C2C: D3AC6000 000397D2 D3AD8C10 844271A8
	s_add_u32 m0, 0x2100, s64                                  // 000000004C3C: 807C40FF 00002100
	buffer_load_dwordx4 v214, s[12:15], 0 offen lds            // 000000004C44: E05D1000 800300D6
	v_mfma_scale_f32_16x16x128_f8f6f4 a[20:23], v[168:171], v[60:63], a[20:23], v210, v203 op_sel_hi:[0,0,0] cbsz:4 blgp:4// 000000004C4C: D3AC7000 000397D2 D3AD8C14 845279A8
	s_add_u32 s62, 0x200, s60                                  // 000000004C5C: 803E3CFF 00000200
	s_cmp_lt_u32 s62, s61                                      // 000000004C64: BF0A3D3E
	v_mfma_scale_f32_16x16x128_f8f6f4 a[24:27], v[172:175], v[56:59], a[24:27], v210, v203 op_sel_hi:[0,0,0] cbsz:4 blgp:4// 000000004C68: D3AC6800 000397D2 D3AD8C18 846271AC
	s_cselect_b32 s66, s66, 0                                  // 000000004C78: 85428042
	buffer_load_dwordx4 v[120:123], v221, s[16:19], 0 offen    // 000000004C7C: E05C1000 800478DD
	v_mfma_scale_f32_16x16x128_f8f6f4 a[28:31], v[172:175], v[60:63], a[28:31], v210, v203 op_sel_hi:[0,0,0] cbsz:4 blgp:4// 000000004C84: D3AC7800 000397D2 D3AD8C1C 847279AC
	s_cselect_b32 s68, s68, 0                                  // 000000004C94: 85448044
	s_add_u32 s12, s12, s66                                    // 000000004C98: 800C420C
	v_mfma_scale_f32_16x16x128_f8f6f4 a[16:19], v[176:179], v[64:67], a[16:19], v210, v203 op_sel_hi:[0,0,0] cbsz:4 blgp:4// 000000004C9C: D3AC6000 180397D2 D3AD8C10 844281B0
	s_addc_u32 s13, 0, s13                                     // 000000004CAC: 820D0D80
	buffer_load_dwordx4 v[124:127], v222, s[16:19], 0 offen    // 000000004CB0: E05C1000 80047CDE
	v_mfma_scale_f32_16x16x128_f8f6f4 a[20:23], v[176:179], v[68:71], a[20:23], v210, v203 op_sel_hi:[0,0,0] cbsz:4 blgp:4// 000000004CB8: D3AC7000 180397D2 D3AD8C14 845289B0
	s_sub_u32 s14, s14, s66                                    // 000000004CC8: 808E420E
	s_add_u32 s20, s20, s68                                    // 000000004CCC: 80144414
	v_mfma_scale_f32_16x16x128_f8f6f4 a[24:27], v[180:183], v[64:67], a[24:27], v210, v203 op_sel_hi:[0,0,0] cbsz:4 blgp:4// 000000004CD0: D3AC6800 180397D2 D3AD8C18 846281B4
	s_addc_u32 s21, 0, s21                                     // 000000004CE0: 82151580
	buffer_load_dwordx4 v[128:131], v221, s[16:19], 0 offen offset:1024// 000000004CE4: E05C1400 800480DD
	v_mfma_scale_f32_16x16x128_f8f6f4 a[28:31], v[180:183], v[68:71], a[28:31], v210, v203 op_sel_hi:[0,0,0] cbsz:4 blgp:4// 000000004CEC: D3AC7800 180397D2 D3AD8C1C 847289B4
	s_sub_u32 s22, s22, s68                                    // 000000004CFC: 80964416
	v_mfma_scale_f32_16x16x128_f8f6f4 a[64:67], v[168:171], v[72:75], a[64:67], v210, v204 op_sel_hi:[0,0,0] cbsz:4 blgp:4// 000000004D00: D3AC6000 000399D2 D3AD8C40 850291A8
	buffer_load_dwordx4 v[132:135], v222, s[16:19], 0 offen offset:1024// 000000004D10: E05C1400 800484DE
	v_mfma_scale_f32_16x16x128_f8f6f4 a[68:71], v[168:171], v[76:79], a[68:71], v210, v204 op_sel_hi:[0,0,0] cbsz:4 blgp:4// 000000004D18: D3AC7000 000399D2 D3AD8C44 851299A8
	v_mfma_scale_f32_16x16x128_f8f6f4 a[72:75], v[172:175], v[72:75], a[72:75], v210, v204 op_sel_hi:[0,0,0] cbsz:4 blgp:4// 000000004D28: D3AC6800 000399D2 D3AD8C48 852291AC
	buffer_load_dword v207, v226, s[24:27], 0 offen            // 000000004D38: E0501000 8006CFE2
	v_mfma_scale_f32_16x16x128_f8f6f4 a[76:79], v[172:175], v[76:79], a[76:79], v210, v204 op_sel_hi:[0,0,0] cbsz:4 blgp:4// 000000004D40: D3AC7800 000399D2 D3AD8C4C 853299AC
	v_mfma_scale_f32_16x16x128_f8f6f4 a[64:67], v[176:179], v[80:83], a[64:67], v210, v204 op_sel_hi:[0,0,0] cbsz:4 blgp:4// 000000004D50: D3AC6000 180399D2 D3AD8C40 8502A1B0
	v_mfma_scale_f32_16x16x128_f8f6f4 a[68:71], v[176:179], v[84:87], a[68:71], v210, v204 op_sel_hi:[0,0,0] cbsz:4 blgp:4// 000000004D60: D3AC7000 180399D2 D3AD8C44 8512A9B0
	v_mfma_scale_f32_16x16x128_f8f6f4 a[72:75], v[180:183], v[80:83], a[72:75], v210, v204 op_sel_hi:[0,0,0] cbsz:4 blgp:4// 000000004D70: D3AC6800 180399D2 D3AD8C48 8522A1B4
	v_mfma_scale_f32_16x16x128_f8f6f4 a[76:79], v[180:183], v[84:87], a[76:79], v210, v204 op_sel_hi:[0,0,0] cbsz:4 blgp:4// 000000004D80: D3AC7800 180399D2 D3AD8C4C 8532A9B4
	v_mfma_scale_f32_16x16x128_f8f6f4 a[112:115], v[168:171], v[88:91], a[112:115], v210, v205 op_sel_hi:[0,0,0] cbsz:4 blgp:4// 000000004D90: D3AC6000 00039BD2 D3AD8C70 85C2B1A8
	v_mfma_scale_f32_16x16x128_f8f6f4 a[116:119], v[168:171], v[92:95], a[116:119], v210, v205 op_sel_hi:[0,0,0] cbsz:4 blgp:4// 000000004DA0: D3AC7000 00039BD2 D3AD8C74 85D2B9A8
	v_mfma_scale_f32_16x16x128_f8f6f4 a[120:123], v[172:175], v[88:91], a[120:123], v210, v205 op_sel_hi:[0,0,0] cbsz:4 blgp:4// 000000004DB0: D3AC6800 00039BD2 D3AD8C78 85E2B1AC
	v_mfma_scale_f32_16x16x128_f8f6f4 a[124:127], v[172:175], v[92:95], a[124:127], v210, v205 op_sel_hi:[0,0,0] cbsz:4 blgp:4// 000000004DC0: D3AC7800 00039BD2 D3AD8C7C 85F2B9AC
	v_mfma_scale_f32_16x16x128_f8f6f4 a[112:115], v[176:179], v[96:99], a[112:115], v210, v205 op_sel_hi:[0,0,0] cbsz:4 blgp:4// 000000004DD0: D3AC6000 18039BD2 D3AD8C70 85C2C1B0
	v_mfma_scale_f32_16x16x128_f8f6f4 a[116:119], v[176:179], v[100:103], a[116:119], v210, v205 op_sel_hi:[0,0,0] cbsz:4 blgp:4// 000000004DE0: D3AC7000 18039BD2 D3AD8C74 85D2C9B0
	v_mfma_scale_f32_16x16x128_f8f6f4 a[120:123], v[180:183], v[96:99], a[120:123], v210, v205 op_sel_hi:[0,0,0] cbsz:4 blgp:4// 000000004DF0: D3AC6800 18039BD2 D3AD8C78 85E2C1B4
	v_mfma_scale_f32_16x16x128_f8f6f4 a[124:127], v[180:183], v[100:103], a[124:127], v210, v205 op_sel_hi:[0,0,0] cbsz:4 blgp:4// 000000004E00: D3AC7800 18039BD2 D3AD8C7C 85F2C9B4
	s_waitcnt vmcnt(14)                                        // 000000004E10: BF8C0F7E
	v_mfma_scale_f32_16x16x128_f8f6f4 a[32:35], v[184:187], v[56:59], a[32:35], v211, v203 op_sel_hi:[0,0,0] cbsz:4 blgp:4// 000000004E14: D3AC6000 000397D3 D3AD8C20 848271B8
	s_add_u32 s63, 0x200, s60                                  // 000000004E24: 803F3CFF 00000200
	buffer_load_dwordx4 v[136:139], v223, s[16:19], 0 offen    // 000000004E2C: E05C1000 800488DF
	v_mfma_scale_f32_16x16x128_f8f6f4 a[36:39], v[184:187], v[60:63], a[36:39], v211, v203 op_sel_hi:[0,0,0] cbsz:4 blgp:4// 000000004E34: D3AC7000 000397D3 D3AD8C24 849279B8
	s_cmp_lt_u32 s63, s61                                      // 000000004E44: BF0A3D3F
	s_cselect_b32 s67, s67, 0                                  // 000000004E48: 85438043
	v_mfma_scale_f32_16x16x128_f8f6f4 a[40:43], v[188:191], v[56:59], a[40:43], v211, v203 op_sel_hi:[0,0,0] cbsz:4 blgp:4// 000000004E4C: D3AC6800 000397D3 D3AD8C28 84A271BC
	s_cselect_b32 s69, s69, 0                                  // 000000004E5C: 85458045
	buffer_load_dwordx4 v[140:143], v224, s[16:19], 0 offen    // 000000004E60: E05C1000 80048CE0
	v_mfma_scale_f32_16x16x128_f8f6f4 a[44:47], v[188:191], v[60:63], a[44:47], v211, v203 op_sel_hi:[0,0,0] cbsz:4 blgp:4// 000000004E68: D3AC7800 000397D3 D3AD8C2C 84B279BC
	v_mfma_scale_f32_16x16x128_f8f6f4 a[32:35], v[192:195], v[64:67], a[32:35], v211, v203 op_sel_hi:[0,0,0] cbsz:4 blgp:4// 000000004E78: D3AC6000 180397D3 D3AD8C20 848281C0
	buffer_load_dwordx4 v[144:147], v223, s[16:19], 0 offen offset:1024// 000000004E88: E05C1400 800490DF
	v_mfma_scale_f32_16x16x128_f8f6f4 a[36:39], v[192:195], v[68:71], a[36:39], v211, v203 op_sel_hi:[0,0,0] cbsz:4 blgp:4// 000000004E90: D3AC7000 180397D3 D3AD8C24 849289C0
	v_mfma_scale_f32_16x16x128_f8f6f4 a[40:43], v[196:199], v[64:67], a[40:43], v211, v203 op_sel_hi:[0,0,0] cbsz:4 blgp:4// 000000004EA0: D3AC6800 180397D3 D3AD8C28 84A281C4
	buffer_load_dwordx4 v[148:151], v224, s[16:19], 0 offen offset:1024// 000000004EB0: E05C1400 800494E0
	v_mfma_scale_f32_16x16x128_f8f6f4 a[44:47], v[196:199], v[68:71], a[44:47], v211, v203 op_sel_hi:[0,0,0] cbsz:4 blgp:4// 000000004EB8: D3AC7800 180397D3 D3AD8C2C 84B289C4
	s_waitcnt vmcnt(15)                                        // 000000004EC8: BF8C0F7F
	s_barrier                                                  // 000000004ECC: BF8A0000
	v_mfma_scale_f32_16x16x128_f8f6f4 a[80:83], v[184:187], v[72:75], a[80:83], v211, v204 op_sel_hi:[0,0,0] cbsz:4 blgp:4// 000000004ED0: D3AC6000 000399D3 D3AD8C50 854291B8
	buffer_load_dword v208, v227, s[24:27], 0 offen            // 000000004EE0: E0501000 8006D0E3
	v_mfma_scale_f32_16x16x128_f8f6f4 a[84:87], v[184:187], v[76:79], a[84:87], v211, v204 op_sel_hi:[0,0,0] cbsz:4 blgp:4// 000000004EE8: D3AC7000 000399D3 D3AD8C54 855299B8
	s_add_u32 s16, s16, s67                                    // 000000004EF8: 80104310
	ds_read_b128 v[8:11], v215                                 // 000000004EFC: D9FE0000 080000D7
	v_mfma_scale_f32_16x16x128_f8f6f4 a[88:91], v[188:191], v[72:75], a[88:91], v211, v204 op_sel_hi:[0,0,0] cbsz:4 blgp:4// 000000004F04: D3AC6800 000399D3 D3AD8C58 856291BC
	s_addc_u32 s17, 0, s17                                     // 000000004F14: 82111180
	s_sub_u32 s18, s18, s67                                    // 000000004F18: 80924312
	v_mfma_scale_f32_16x16x128_f8f6f4 a[92:95], v[188:191], v[76:79], a[92:95], v211, v204 op_sel_hi:[0,0,0] cbsz:4 blgp:4// 000000004F1C: D3AC7800 000399D3 D3AD8C5C 857299BC
	s_add_u32 s24, s24, s69                                    // 000000004F2C: 80184518
	ds_read_b128 v[16:19], v215 offset:64                      // 000000004F30: D9FE0040 100000D7
	v_mfma_scale_f32_16x16x128_f8f6f4 a[80:83], v[192:195], v[80:83], a[80:83], v211, v204 op_sel_hi:[0,0,0] cbsz:4 blgp:4// 000000004F38: D3AC6000 180399D3 D3AD8C50 8542A1C0
	s_addc_u32 s25, 0, s25                                     // 000000004F48: 82191980
	s_sub_u32 s26, s26, s69                                    // 000000004F4C: 809A451A
	v_mfma_scale_f32_16x16x128_f8f6f4 a[84:87], v[192:195], v[84:87], a[84:87], v211, v204 op_sel_hi:[0,0,0] cbsz:4 blgp:4// 000000004F50: D3AC7000 180399D3 D3AD8C54 8552A9C0
	s_addk_i32 s60, 0x100                                      // 000000004F60: B73C0100
	ds_read_b128 v[12:15], v215 offset:512                     // 000000004F64: D9FE0200 0C0000D7
	v_mfma_scale_f32_16x16x128_f8f6f4 a[88:91], v[196:199], v[80:83], a[88:91], v211, v204 op_sel_hi:[0,0,0] cbsz:4 blgp:4// 000000004F6C: D3AC6800 180399D3 D3AD8C58 8562A1C4
	s_cmp_lt_i32 s60, s61                                      // 000000004F7C: BF043D3C
	v_mfma_scale_f32_16x16x128_f8f6f4 a[92:95], v[196:199], v[84:87], a[92:95], v211, v204 op_sel_hi:[0,0,0] cbsz:4 blgp:4// 000000004F80: D3AC7800 180399D3 D3AD8C5C 8572A9C4
	ds_read_b128 v[20:23], v215 offset:576                     // 000000004F90: D9FE0240 140000D7
	ds_read_b32 v200, v218                                     // 000000004F98: D86C0000 C80000DA
	v_mfma_scale_f32_16x16x128_f8f6f4 a[128:131], v[184:187], v[88:91], a[128:131], v211, v205 op_sel_hi:[0,0,0] cbsz:4 blgp:4// 000000004FA0: D3AC6000 00039BD3 D3AD8C80 8602B1B8
	v_mfma_scale_f32_16x16x128_f8f6f4 a[132:135], v[184:187], v[92:95], a[132:135], v211, v205 op_sel_hi:[0,0,0] cbsz:4 blgp:4// 000000004FB0: D3AC7000 00039BD3 D3AD8C84 8612B9B8
	ds_read_b128 v[24:27], v215 offset:4224                    // 000000004FC0: D9FE1080 180000D7
	v_mfma_scale_f32_16x16x128_f8f6f4 a[136:139], v[188:191], v[88:91], a[136:139], v211, v205 op_sel_hi:[0,0,0] cbsz:4 blgp:4// 000000004FC8: D3AC6800 00039BD3 D3AD8C88 8622B1BC
	v_mfma_scale_f32_16x16x128_f8f6f4 a[140:143], v[188:191], v[92:95], a[140:143], v211, v205 op_sel_hi:[0,0,0] cbsz:4 blgp:4// 000000004FD8: D3AC7800 00039BD3 D3AD8C8C 8632B9BC
	ds_read_b128 v[32:35], v215 offset:4288                    // 000000004FE8: D9FE10C0 200000D7
	v_mfma_scale_f32_16x16x128_f8f6f4 a[128:131], v[192:195], v[96:99], a[128:131], v211, v205 op_sel_hi:[0,0,0] cbsz:4 blgp:4// 000000004FF0: D3AC6000 18039BD3 D3AD8C80 8602C1C0
	v_mfma_scale_f32_16x16x128_f8f6f4 a[132:135], v[192:195], v[100:103], a[132:135], v211, v205 op_sel_hi:[0,0,0] cbsz:4 blgp:4// 000000005000: D3AC7000 18039BD3 D3AD8C84 8612C9C0
	ds_read_b128 v[28:31], v215 offset:4736                    // 000000005010: D9FE1280 1C0000D7
	v_mfma_scale_f32_16x16x128_f8f6f4 a[136:139], v[196:199], v[96:99], a[136:139], v211, v205 op_sel_hi:[0,0,0] cbsz:4 blgp:4// 000000005018: D3AC6800 18039BD3 D3AD8C88 8622C1C4
	v_mfma_scale_f32_16x16x128_f8f6f4 a[140:143], v[196:199], v[100:103], a[140:143], v211, v205 op_sel_hi:[0,0,0] cbsz:4 blgp:4// 000000005028: D3AC7800 18039BD3 D3AD8C8C 8632C9C4
	ds_read_b128 v[36:39], v215 offset:4800                    // 000000005038: D9FE12C0 240000D7
	ds_read_b32 v201, v218 offset:256                          // 000000005040: D86C0100 C90000DA
	s_cbranch_scc0 label_0914                                  // 000000005048: BF840001
	s_branch label_05FB                                        // 00000000504C: BF82FCE7

0000000000005050 <label_0914>:
	s_waitcnt lgkmcnt(0)                                       // 000000005050: BF8CC07F
	s_mul_i32 s62, s47, 0x180                                  // 000000005054: 923EFF2F 00000180
	s_mul_i32 s63, s46, 0x60                                   // 00000000505C: 923FFF2E 00000060
	s_add_u32 s60, s62, s63                                    // 000000005064: 803C3F3E
	s_add_u32 s62, s60, 0x60                                   // 000000005068: 803EFF3C 00000060
	s_cmp_lt_i32 s44, s62                                      // 000000005070: BF043E2C
	s_cbranch_scc1 label_0B64                                  // 000000005074: BF850246
	s_mul_i32 s62, s36, 16                                     // 000000005078: 923E9024
	v_add_u32_e32 v232, 0, v228                                // 00000000507C: 69D1C880
	v_accvgpr_read_b32 v8, a0                                  // 000000005080: D3D84008 18000100
	v_accvgpr_read_b32 v9, a1                                  // 000000005088: D3D84009 18000101
	v_accvgpr_read_b32 v10, a2                                 // 000000005090: D3D8400A 18000102
	v_accvgpr_read_b32 v11, a3                                 // 000000005098: D3D8400B 18000103
	v_accvgpr_read_b32 v12, a8                                 // 0000000050A0: D3D8400C 18000108
	v_accvgpr_read_b32 v13, a9                                 // 0000000050A8: D3D8400D 18000109
	v_accvgpr_read_b32 v14, a10                                // 0000000050B0: D3D8400E 1800010A
	v_accvgpr_read_b32 v15, a11                                // 0000000050B8: D3D8400F 1800010B
	v_cvt_pk_bf16_f32 v16, v8, v9                              // 0000000050C0: D2680010 00021308
	v_cvt_pk_bf16_f32 v17, v10, v11                            // 0000000050C8: D2680011 0002170A
	v_cvt_pk_bf16_f32 v18, v12, v13                            // 0000000050D0: D2680012 00021B0C
	v_cvt_pk_bf16_f32 v19, v14, v15                            // 0000000050D8: D2680013 00021F0E
	s_nop 1                                                    // 0000000050E0: BF800001
	v_permlane16_swap_b32_e32 v16, v18                         // 0000000050E4: 7E20B312
	s_nop 1                                                    // 0000000050E8: BF800001
	v_permlane16_swap_b32_e32 v17, v19                         // 0000000050EC: 7E22B313
	s_nop 1                                                    // 0000000050F0: BF800001
	buffer_store_dwordx4 v[16:19], v232, s[4:7], 0 offen       // 0000000050F4: E07C1000 800110E8
	v_add_u32_e32 v232, s62, v232                              // 0000000050FC: 69D1D03E
	v_accvgpr_read_b32 v8, a4                                  // 000000005100: D3D84008 18000104
	v_accvgpr_read_b32 v9, a5                                  // 000000005108: D3D84009 18000105
	v_accvgpr_read_b32 v10, a6                                 // 000000005110: D3D8400A 18000106
	v_accvgpr_read_b32 v11, a7                                 // 000000005118: D3D8400B 18000107
	v_accvgpr_read_b32 v12, a12                                // 000000005120: D3D8400C 1800010C
	v_accvgpr_read_b32 v13, a13                                // 000000005128: D3D8400D 1800010D
	v_accvgpr_read_b32 v14, a14                                // 000000005130: D3D8400E 1800010E
	v_accvgpr_read_b32 v15, a15                                // 000000005138: D3D8400F 1800010F
	v_cvt_pk_bf16_f32 v16, v8, v9                              // 000000005140: D2680010 00021308
	v_cvt_pk_bf16_f32 v17, v10, v11                            // 000000005148: D2680011 0002170A
	v_cvt_pk_bf16_f32 v18, v12, v13                            // 000000005150: D2680012 00021B0C
	v_cvt_pk_bf16_f32 v19, v14, v15                            // 000000005158: D2680013 00021F0E
	s_nop 1                                                    // 000000005160: BF800001
	v_permlane16_swap_b32_e32 v16, v18                         // 000000005164: 7E20B312
	s_nop 1                                                    // 000000005168: BF800001
	v_permlane16_swap_b32_e32 v17, v19                         // 00000000516C: 7E22B313
	s_nop 1                                                    // 000000005170: BF800001
	buffer_store_dwordx4 v[16:19], v232, s[4:7], 0 offen       // 000000005174: E07C1000 800110E8
	v_add_u32_e32 v232, s62, v232                              // 00000000517C: 69D1D03E
	v_accvgpr_read_b32 v8, a48                                 // 000000005180: D3D84008 18000130
	v_accvgpr_read_b32 v9, a49                                 // 000000005188: D3D84009 18000131
	v_accvgpr_read_b32 v10, a50                                // 000000005190: D3D8400A 18000132
	v_accvgpr_read_b32 v11, a51                                // 000000005198: D3D8400B 18000133
	v_accvgpr_read_b32 v12, a56                                // 0000000051A0: D3D8400C 18000138
	v_accvgpr_read_b32 v13, a57                                // 0000000051A8: D3D8400D 18000139
	v_accvgpr_read_b32 v14, a58                                // 0000000051B0: D3D8400E 1800013A
	v_accvgpr_read_b32 v15, a59                                // 0000000051B8: D3D8400F 1800013B
	v_cvt_pk_bf16_f32 v16, v8, v9                              // 0000000051C0: D2680010 00021308
	v_cvt_pk_bf16_f32 v17, v10, v11                            // 0000000051C8: D2680011 0002170A
	v_cvt_pk_bf16_f32 v18, v12, v13                            // 0000000051D0: D2680012 00021B0C
	v_cvt_pk_bf16_f32 v19, v14, v15                            // 0000000051D8: D2680013 00021F0E
	s_nop 1                                                    // 0000000051E0: BF800001
	v_permlane16_swap_b32_e32 v16, v18                         // 0000000051E4: 7E20B312
	s_nop 1                                                    // 0000000051E8: BF800001
	v_permlane16_swap_b32_e32 v17, v19                         // 0000000051EC: 7E22B313
	s_nop 1                                                    // 0000000051F0: BF800001
	buffer_store_dwordx4 v[16:19], v232, s[4:7], 0 offen       // 0000000051F4: E07C1000 800110E8
	v_add_u32_e32 v232, s62, v232                              // 0000000051FC: 69D1D03E
	v_accvgpr_read_b32 v8, a52                                 // 000000005200: D3D84008 18000134
	v_accvgpr_read_b32 v9, a53                                 // 000000005208: D3D84009 18000135
	v_accvgpr_read_b32 v10, a54                                // 000000005210: D3D8400A 18000136
	v_accvgpr_read_b32 v11, a55                                // 000000005218: D3D8400B 18000137
	v_accvgpr_read_b32 v12, a60                                // 000000005220: D3D8400C 1800013C
	v_accvgpr_read_b32 v13, a61                                // 000000005228: D3D8400D 1800013D
	v_accvgpr_read_b32 v14, a62                                // 000000005230: D3D8400E 1800013E
	v_accvgpr_read_b32 v15, a63                                // 000000005238: D3D8400F 1800013F
	v_cvt_pk_bf16_f32 v16, v8, v9                              // 000000005240: D2680010 00021308
	v_cvt_pk_bf16_f32 v17, v10, v11                            // 000000005248: D2680011 0002170A
	v_cvt_pk_bf16_f32 v18, v12, v13                            // 000000005250: D2680012 00021B0C
	v_cvt_pk_bf16_f32 v19, v14, v15                            // 000000005258: D2680013 00021F0E
	s_nop 1                                                    // 000000005260: BF800001
	v_permlane16_swap_b32_e32 v16, v18                         // 000000005264: 7E20B312
	s_nop 1                                                    // 000000005268: BF800001
	v_permlane16_swap_b32_e32 v17, v19                         // 00000000526C: 7E22B313
	s_nop 1                                                    // 000000005270: BF800001
	buffer_store_dwordx4 v[16:19], v232, s[4:7], 0 offen       // 000000005274: E07C1000 800110E8
	v_add_u32_e32 v232, s62, v232                              // 00000000527C: 69D1D03E
	v_accvgpr_read_b32 v8, a96                                 // 000000005280: D3D84008 18000160
	v_accvgpr_read_b32 v9, a97                                 // 000000005288: D3D84009 18000161
	v_accvgpr_read_b32 v10, a98                                // 000000005290: D3D8400A 18000162
	v_accvgpr_read_b32 v11, a99                                // 000000005298: D3D8400B 18000163
	v_accvgpr_read_b32 v12, a104                               // 0000000052A0: D3D8400C 18000168
	v_accvgpr_read_b32 v13, a105                               // 0000000052A8: D3D8400D 18000169
	v_accvgpr_read_b32 v14, a106                               // 0000000052B0: D3D8400E 1800016A
	v_accvgpr_read_b32 v15, a107                               // 0000000052B8: D3D8400F 1800016B
	v_cvt_pk_bf16_f32 v16, v8, v9                              // 0000000052C0: D2680010 00021308
	v_cvt_pk_bf16_f32 v17, v10, v11                            // 0000000052C8: D2680011 0002170A
	v_cvt_pk_bf16_f32 v18, v12, v13                            // 0000000052D0: D2680012 00021B0C
	v_cvt_pk_bf16_f32 v19, v14, v15                            // 0000000052D8: D2680013 00021F0E
	s_nop 1                                                    // 0000000052E0: BF800001
	v_permlane16_swap_b32_e32 v16, v18                         // 0000000052E4: 7E20B312
	s_nop 1                                                    // 0000000052E8: BF800001
	v_permlane16_swap_b32_e32 v17, v19                         // 0000000052EC: 7E22B313
	s_nop 1                                                    // 0000000052F0: BF800001
	buffer_store_dwordx4 v[16:19], v232, s[4:7], 0 offen       // 0000000052F4: E07C1000 800110E8
	v_add_u32_e32 v232, s62, v232                              // 0000000052FC: 69D1D03E
	v_accvgpr_read_b32 v8, a100                                // 000000005300: D3D84008 18000164
	v_accvgpr_read_b32 v9, a101                                // 000000005308: D3D84009 18000165
	v_accvgpr_read_b32 v10, a102                               // 000000005310: D3D8400A 18000166
	v_accvgpr_read_b32 v11, a103                               // 000000005318: D3D8400B 18000167
	v_accvgpr_read_b32 v12, a108                               // 000000005320: D3D8400C 1800016C
	v_accvgpr_read_b32 v13, a109                               // 000000005328: D3D8400D 1800016D
	v_accvgpr_read_b32 v14, a110                               // 000000005330: D3D8400E 1800016E
	v_accvgpr_read_b32 v15, a111                               // 000000005338: D3D8400F 1800016F
	v_cvt_pk_bf16_f32 v16, v8, v9                              // 000000005340: D2680010 00021308
	v_cvt_pk_bf16_f32 v17, v10, v11                            // 000000005348: D2680011 0002170A
	v_cvt_pk_bf16_f32 v18, v12, v13                            // 000000005350: D2680012 00021B0C
	v_cvt_pk_bf16_f32 v19, v14, v15                            // 000000005358: D2680013 00021F0E
	s_nop 1                                                    // 000000005360: BF800001
	v_permlane16_swap_b32_e32 v16, v18                         // 000000005364: 7E20B312
	s_nop 1                                                    // 000000005368: BF800001
	v_permlane16_swap_b32_e32 v17, v19                         // 00000000536C: 7E22B313
	s_nop 1                                                    // 000000005370: BF800001
	buffer_store_dwordx4 v[16:19], v232, s[4:7], 0 offen       // 000000005374: E07C1000 800110E8
	v_add_u32_e32 v232, s62, v232                              // 00000000537C: 69D1D03E
	v_add_u32_e32 v232, 64, v228                               // 000000005380: 69D1C8C0
	v_accvgpr_read_b32 v8, a16                                 // 000000005384: D3D84008 18000110
	v_accvgpr_read_b32 v9, a17                                 // 00000000538C: D3D84009 18000111
	v_accvgpr_read_b32 v10, a18                                // 000000005394: D3D8400A 18000112
	v_accvgpr_read_b32 v11, a19                                // 00000000539C: D3D8400B 18000113
	v_accvgpr_read_b32 v12, a24                                // 0000000053A4: D3D8400C 18000118
	v_accvgpr_read_b32 v13, a25                                // 0000000053AC: D3D8400D 18000119
	v_accvgpr_read_b32 v14, a26                                // 0000000053B4: D3D8400E 1800011A
	v_accvgpr_read_b32 v15, a27                                // 0000000053BC: D3D8400F 1800011B
	v_cvt_pk_bf16_f32 v16, v8, v9                              // 0000000053C4: D2680010 00021308
	v_cvt_pk_bf16_f32 v17, v10, v11                            // 0000000053CC: D2680011 0002170A
	v_cvt_pk_bf16_f32 v18, v12, v13                            // 0000000053D4: D2680012 00021B0C
	v_cvt_pk_bf16_f32 v19, v14, v15                            // 0000000053DC: D2680013 00021F0E
	s_nop 1                                                    // 0000000053E4: BF800001
	v_permlane16_swap_b32_e32 v16, v18                         // 0000000053E8: 7E20B312
	s_nop 1                                                    // 0000000053EC: BF800001
	v_permlane16_swap_b32_e32 v17, v19                         // 0000000053F0: 7E22B313
	s_nop 1                                                    // 0000000053F4: BF800001
	buffer_store_dwordx4 v[16:19], v232, s[4:7], 0 offen       // 0000000053F8: E07C1000 800110E8
	v_add_u32_e32 v232, s62, v232                              // 000000005400: 69D1D03E
	v_accvgpr_read_b32 v8, a20                                 // 000000005404: D3D84008 18000114
	v_accvgpr_read_b32 v9, a21                                 // 00000000540C: D3D84009 18000115
	v_accvgpr_read_b32 v10, a22                                // 000000005414: D3D8400A 18000116
	v_accvgpr_read_b32 v11, a23                                // 00000000541C: D3D8400B 18000117
	v_accvgpr_read_b32 v12, a28                                // 000000005424: D3D8400C 1800011C
	v_accvgpr_read_b32 v13, a29                                // 00000000542C: D3D8400D 1800011D
	v_accvgpr_read_b32 v14, a30                                // 000000005434: D3D8400E 1800011E
	v_accvgpr_read_b32 v15, a31                                // 00000000543C: D3D8400F 1800011F
	v_cvt_pk_bf16_f32 v16, v8, v9                              // 000000005444: D2680010 00021308
	v_cvt_pk_bf16_f32 v17, v10, v11                            // 00000000544C: D2680011 0002170A
	v_cvt_pk_bf16_f32 v18, v12, v13                            // 000000005454: D2680012 00021B0C
	v_cvt_pk_bf16_f32 v19, v14, v15                            // 00000000545C: D2680013 00021F0E
	s_nop 1                                                    // 000000005464: BF800001
	v_permlane16_swap_b32_e32 v16, v18                         // 000000005468: 7E20B312
	s_nop 1                                                    // 00000000546C: BF800001
	v_permlane16_swap_b32_e32 v17, v19                         // 000000005470: 7E22B313
	s_nop 1                                                    // 000000005474: BF800001
	buffer_store_dwordx4 v[16:19], v232, s[4:7], 0 offen       // 000000005478: E07C1000 800110E8
	v_add_u32_e32 v232, s62, v232                              // 000000005480: 69D1D03E
	v_accvgpr_read_b32 v8, a64                                 // 000000005484: D3D84008 18000140
	v_accvgpr_read_b32 v9, a65                                 // 00000000548C: D3D84009 18000141
	v_accvgpr_read_b32 v10, a66                                // 000000005494: D3D8400A 18000142
	v_accvgpr_read_b32 v11, a67                                // 00000000549C: D3D8400B 18000143
	v_accvgpr_read_b32 v12, a72                                // 0000000054A4: D3D8400C 18000148
	v_accvgpr_read_b32 v13, a73                                // 0000000054AC: D3D8400D 18000149
	v_accvgpr_read_b32 v14, a74                                // 0000000054B4: D3D8400E 1800014A
	v_accvgpr_read_b32 v15, a75                                // 0000000054BC: D3D8400F 1800014B
	v_cvt_pk_bf16_f32 v16, v8, v9                              // 0000000054C4: D2680010 00021308
	v_cvt_pk_bf16_f32 v17, v10, v11                            // 0000000054CC: D2680011 0002170A
	v_cvt_pk_bf16_f32 v18, v12, v13                            // 0000000054D4: D2680012 00021B0C
	v_cvt_pk_bf16_f32 v19, v14, v15                            // 0000000054DC: D2680013 00021F0E
	s_nop 1                                                    // 0000000054E4: BF800001
	v_permlane16_swap_b32_e32 v16, v18                         // 0000000054E8: 7E20B312
	s_nop 1                                                    // 0000000054EC: BF800001
	v_permlane16_swap_b32_e32 v17, v19                         // 0000000054F0: 7E22B313
	s_nop 1                                                    // 0000000054F4: BF800001
	buffer_store_dwordx4 v[16:19], v232, s[4:7], 0 offen       // 0000000054F8: E07C1000 800110E8
	v_add_u32_e32 v232, s62, v232                              // 000000005500: 69D1D03E
	v_accvgpr_read_b32 v8, a68                                 // 000000005504: D3D84008 18000144
	v_accvgpr_read_b32 v9, a69                                 // 00000000550C: D3D84009 18000145
	v_accvgpr_read_b32 v10, a70                                // 000000005514: D3D8400A 18000146
	v_accvgpr_read_b32 v11, a71                                // 00000000551C: D3D8400B 18000147
	v_accvgpr_read_b32 v12, a76                                // 000000005524: D3D8400C 1800014C
	v_accvgpr_read_b32 v13, a77                                // 00000000552C: D3D8400D 1800014D
	v_accvgpr_read_b32 v14, a78                                // 000000005534: D3D8400E 1800014E
	v_accvgpr_read_b32 v15, a79                                // 00000000553C: D3D8400F 1800014F
	v_cvt_pk_bf16_f32 v16, v8, v9                              // 000000005544: D2680010 00021308
	v_cvt_pk_bf16_f32 v17, v10, v11                            // 00000000554C: D2680011 0002170A
	v_cvt_pk_bf16_f32 v18, v12, v13                            // 000000005554: D2680012 00021B0C
	v_cvt_pk_bf16_f32 v19, v14, v15                            // 00000000555C: D2680013 00021F0E
	s_nop 1                                                    // 000000005564: BF800001
	v_permlane16_swap_b32_e32 v16, v18                         // 000000005568: 7E20B312
	s_nop 1                                                    // 00000000556C: BF800001
	v_permlane16_swap_b32_e32 v17, v19                         // 000000005570: 7E22B313
	s_nop 1                                                    // 000000005574: BF800001
	buffer_store_dwordx4 v[16:19], v232, s[4:7], 0 offen       // 000000005578: E07C1000 800110E8
	v_add_u32_e32 v232, s62, v232                              // 000000005580: 69D1D03E
	v_accvgpr_read_b32 v8, a112                                // 000000005584: D3D84008 18000170
	v_accvgpr_read_b32 v9, a113                                // 00000000558C: D3D84009 18000171
	v_accvgpr_read_b32 v10, a114                               // 000000005594: D3D8400A 18000172
	v_accvgpr_read_b32 v11, a115                               // 00000000559C: D3D8400B 18000173
	v_accvgpr_read_b32 v12, a120                               // 0000000055A4: D3D8400C 18000178
	v_accvgpr_read_b32 v13, a121                               // 0000000055AC: D3D8400D 18000179
	v_accvgpr_read_b32 v14, a122                               // 0000000055B4: D3D8400E 1800017A
	v_accvgpr_read_b32 v15, a123                               // 0000000055BC: D3D8400F 1800017B
	v_cvt_pk_bf16_f32 v16, v8, v9                              // 0000000055C4: D2680010 00021308
	v_cvt_pk_bf16_f32 v17, v10, v11                            // 0000000055CC: D2680011 0002170A
	v_cvt_pk_bf16_f32 v18, v12, v13                            // 0000000055D4: D2680012 00021B0C
	v_cvt_pk_bf16_f32 v19, v14, v15                            // 0000000055DC: D2680013 00021F0E
	s_nop 1                                                    // 0000000055E4: BF800001
	v_permlane16_swap_b32_e32 v16, v18                         // 0000000055E8: 7E20B312
	s_nop 1                                                    // 0000000055EC: BF800001
	v_permlane16_swap_b32_e32 v17, v19                         // 0000000055F0: 7E22B313
	s_nop 1                                                    // 0000000055F4: BF800001
	buffer_store_dwordx4 v[16:19], v232, s[4:7], 0 offen       // 0000000055F8: E07C1000 800110E8
	v_add_u32_e32 v232, s62, v232                              // 000000005600: 69D1D03E
	v_accvgpr_read_b32 v8, a116                                // 000000005604: D3D84008 18000174
	v_accvgpr_read_b32 v9, a117                                // 00000000560C: D3D84009 18000175
	v_accvgpr_read_b32 v10, a118                               // 000000005614: D3D8400A 18000176
	v_accvgpr_read_b32 v11, a119                               // 00000000561C: D3D8400B 18000177
	v_accvgpr_read_b32 v12, a124                               // 000000005624: D3D8400C 1800017C
	v_accvgpr_read_b32 v13, a125                               // 00000000562C: D3D8400D 1800017D
	v_accvgpr_read_b32 v14, a126                               // 000000005634: D3D8400E 1800017E
	v_accvgpr_read_b32 v15, a127                               // 00000000563C: D3D8400F 1800017F
	v_cvt_pk_bf16_f32 v16, v8, v9                              // 000000005644: D2680010 00021308
	v_cvt_pk_bf16_f32 v17, v10, v11                            // 00000000564C: D2680011 0002170A
	v_cvt_pk_bf16_f32 v18, v12, v13                            // 000000005654: D2680012 00021B0C
	v_cvt_pk_bf16_f32 v19, v14, v15                            // 00000000565C: D2680013 00021F0E
	s_nop 1                                                    // 000000005664: BF800001
	v_permlane16_swap_b32_e32 v16, v18                         // 000000005668: 7E20B312
	s_nop 1                                                    // 00000000566C: BF800001
	v_permlane16_swap_b32_e32 v17, v19                         // 000000005670: 7E22B313
	s_nop 1                                                    // 000000005674: BF800001
	buffer_store_dwordx4 v[16:19], v232, s[4:7], 0 offen       // 000000005678: E07C1000 800110E8
	v_add_u32_e32 v232, s62, v232                              // 000000005680: 69D1D03E
	v_add_u32_e32 v232, 0x80, v228                             // 000000005684: 69D1C8FF 00000080
	v_accvgpr_read_b32 v8, a32                                 // 00000000568C: D3D84008 18000120
	v_accvgpr_read_b32 v9, a33                                 // 000000005694: D3D84009 18000121
	v_accvgpr_read_b32 v10, a34                                // 00000000569C: D3D8400A 18000122
	v_accvgpr_read_b32 v11, a35                                // 0000000056A4: D3D8400B 18000123
	v_accvgpr_read_b32 v12, a40                                // 0000000056AC: D3D8400C 18000128
	v_accvgpr_read_b32 v13, a41                                // 0000000056B4: D3D8400D 18000129
	v_accvgpr_read_b32 v14, a42                                // 0000000056BC: D3D8400E 1800012A
	v_accvgpr_read_b32 v15, a43                                // 0000000056C4: D3D8400F 1800012B
	v_cvt_pk_bf16_f32 v16, v8, v9                              // 0000000056CC: D2680010 00021308
	v_cvt_pk_bf16_f32 v17, v10, v11                            // 0000000056D4: D2680011 0002170A
	v_cvt_pk_bf16_f32 v18, v12, v13                            // 0000000056DC: D2680012 00021B0C
	v_cvt_pk_bf16_f32 v19, v14, v15                            // 0000000056E4: D2680013 00021F0E
	s_nop 1                                                    // 0000000056EC: BF800001
	v_permlane16_swap_b32_e32 v16, v18                         // 0000000056F0: 7E20B312
	s_nop 1                                                    // 0000000056F4: BF800001
	v_permlane16_swap_b32_e32 v17, v19                         // 0000000056F8: 7E22B313
	s_nop 1                                                    // 0000000056FC: BF800001
	buffer_store_dwordx4 v[16:19], v232, s[4:7], 0 offen       // 000000005700: E07C1000 800110E8
	v_add_u32_e32 v232, s62, v232                              // 000000005708: 69D1D03E
	v_accvgpr_read_b32 v8, a36                                 // 00000000570C: D3D84008 18000124
	v_accvgpr_read_b32 v9, a37                                 // 000000005714: D3D84009 18000125
	v_accvgpr_read_b32 v10, a38                                // 00000000571C: D3D8400A 18000126
	v_accvgpr_read_b32 v11, a39                                // 000000005724: D3D8400B 18000127
	v_accvgpr_read_b32 v12, a44                                // 00000000572C: D3D8400C 1800012C
	v_accvgpr_read_b32 v13, a45                                // 000000005734: D3D8400D 1800012D
	v_accvgpr_read_b32 v14, a46                                // 00000000573C: D3D8400E 1800012E
	v_accvgpr_read_b32 v15, a47                                // 000000005744: D3D8400F 1800012F
	v_cvt_pk_bf16_f32 v16, v8, v9                              // 00000000574C: D2680010 00021308
	v_cvt_pk_bf16_f32 v17, v10, v11                            // 000000005754: D2680011 0002170A
	v_cvt_pk_bf16_f32 v18, v12, v13                            // 00000000575C: D2680012 00021B0C
	v_cvt_pk_bf16_f32 v19, v14, v15                            // 000000005764: D2680013 00021F0E
	s_nop 1                                                    // 00000000576C: BF800001
	v_permlane16_swap_b32_e32 v16, v18                         // 000000005770: 7E20B312
	s_nop 1                                                    // 000000005774: BF800001
	v_permlane16_swap_b32_e32 v17, v19                         // 000000005778: 7E22B313
	s_nop 1                                                    // 00000000577C: BF800001
	buffer_store_dwordx4 v[16:19], v232, s[4:7], 0 offen       // 000000005780: E07C1000 800110E8
	v_add_u32_e32 v232, s62, v232                              // 000000005788: 69D1D03E
	v_accvgpr_read_b32 v8, a80                                 // 00000000578C: D3D84008 18000150
	v_accvgpr_read_b32 v9, a81                                 // 000000005794: D3D84009 18000151
	v_accvgpr_read_b32 v10, a82                                // 00000000579C: D3D8400A 18000152
	v_accvgpr_read_b32 v11, a83                                // 0000000057A4: D3D8400B 18000153
	v_accvgpr_read_b32 v12, a88                                // 0000000057AC: D3D8400C 18000158
	v_accvgpr_read_b32 v13, a89                                // 0000000057B4: D3D8400D 18000159
	v_accvgpr_read_b32 v14, a90                                // 0000000057BC: D3D8400E 1800015A
	v_accvgpr_read_b32 v15, a91                                // 0000000057C4: D3D8400F 1800015B
	v_cvt_pk_bf16_f32 v16, v8, v9                              // 0000000057CC: D2680010 00021308
	v_cvt_pk_bf16_f32 v17, v10, v11                            // 0000000057D4: D2680011 0002170A
	v_cvt_pk_bf16_f32 v18, v12, v13                            // 0000000057DC: D2680012 00021B0C
	v_cvt_pk_bf16_f32 v19, v14, v15                            // 0000000057E4: D2680013 00021F0E
	s_nop 1                                                    // 0000000057EC: BF800001
	v_permlane16_swap_b32_e32 v16, v18                         // 0000000057F0: 7E20B312
	s_nop 1                                                    // 0000000057F4: BF800001
	v_permlane16_swap_b32_e32 v17, v19                         // 0000000057F8: 7E22B313
	s_nop 1                                                    // 0000000057FC: BF800001
	buffer_store_dwordx4 v[16:19], v232, s[4:7], 0 offen       // 000000005800: E07C1000 800110E8
	v_add_u32_e32 v232, s62, v232                              // 000000005808: 69D1D03E
	v_accvgpr_read_b32 v8, a84                                 // 00000000580C: D3D84008 18000154
	v_accvgpr_read_b32 v9, a85                                 // 000000005814: D3D84009 18000155
	v_accvgpr_read_b32 v10, a86                                // 00000000581C: D3D8400A 18000156
	v_accvgpr_read_b32 v11, a87                                // 000000005824: D3D8400B 18000157
	v_accvgpr_read_b32 v12, a92                                // 00000000582C: D3D8400C 1800015C
	v_accvgpr_read_b32 v13, a93                                // 000000005834: D3D8400D 1800015D
	v_accvgpr_read_b32 v14, a94                                // 00000000583C: D3D8400E 1800015E
	v_accvgpr_read_b32 v15, a95                                // 000000005844: D3D8400F 1800015F
	v_cvt_pk_bf16_f32 v16, v8, v9                              // 00000000584C: D2680010 00021308
	v_cvt_pk_bf16_f32 v17, v10, v11                            // 000000005854: D2680011 0002170A
	v_cvt_pk_bf16_f32 v18, v12, v13                            // 00000000585C: D2680012 00021B0C
	v_cvt_pk_bf16_f32 v19, v14, v15                            // 000000005864: D2680013 00021F0E
	s_nop 1                                                    // 00000000586C: BF800001
	v_permlane16_swap_b32_e32 v16, v18                         // 000000005870: 7E20B312
	s_nop 1                                                    // 000000005874: BF800001
	v_permlane16_swap_b32_e32 v17, v19                         // 000000005878: 7E22B313
	s_nop 1                                                    // 00000000587C: BF800001
	buffer_store_dwordx4 v[16:19], v232, s[4:7], 0 offen       // 000000005880: E07C1000 800110E8
	v_add_u32_e32 v232, s62, v232                              // 000000005888: 69D1D03E
	v_accvgpr_read_b32 v8, a128                                // 00000000588C: D3D84008 18000180
	v_accvgpr_read_b32 v9, a129                                // 000000005894: D3D84009 18000181
	v_accvgpr_read_b32 v10, a130                               // 00000000589C: D3D8400A 18000182
	v_accvgpr_read_b32 v11, a131                               // 0000000058A4: D3D8400B 18000183
	v_accvgpr_read_b32 v12, a136                               // 0000000058AC: D3D8400C 18000188
	v_accvgpr_read_b32 v13, a137                               // 0000000058B4: D3D8400D 18000189
	v_accvgpr_read_b32 v14, a138                               // 0000000058BC: D3D8400E 1800018A
	v_accvgpr_read_b32 v15, a139                               // 0000000058C4: D3D8400F 1800018B
	v_cvt_pk_bf16_f32 v16, v8, v9                              // 0000000058CC: D2680010 00021308
	v_cvt_pk_bf16_f32 v17, v10, v11                            // 0000000058D4: D2680011 0002170A
	v_cvt_pk_bf16_f32 v18, v12, v13                            // 0000000058DC: D2680012 00021B0C
	v_cvt_pk_bf16_f32 v19, v14, v15                            // 0000000058E4: D2680013 00021F0E
	s_nop 1                                                    // 0000000058EC: BF800001
	v_permlane16_swap_b32_e32 v16, v18                         // 0000000058F0: 7E20B312
	s_nop 1                                                    // 0000000058F4: BF800001
	v_permlane16_swap_b32_e32 v17, v19                         // 0000000058F8: 7E22B313
	s_nop 1                                                    // 0000000058FC: BF800001
	buffer_store_dwordx4 v[16:19], v232, s[4:7], 0 offen       // 000000005900: E07C1000 800110E8
	v_add_u32_e32 v232, s62, v232                              // 000000005908: 69D1D03E
	v_accvgpr_read_b32 v8, a132                                // 00000000590C: D3D84008 18000184
	v_accvgpr_read_b32 v9, a133                                // 000000005914: D3D84009 18000185
	v_accvgpr_read_b32 v10, a134                               // 00000000591C: D3D8400A 18000186
	v_accvgpr_read_b32 v11, a135                               // 000000005924: D3D8400B 18000187
	v_accvgpr_read_b32 v12, a140                               // 00000000592C: D3D8400C 1800018C
	v_accvgpr_read_b32 v13, a141                               // 000000005934: D3D8400D 1800018D
	v_accvgpr_read_b32 v14, a142                               // 00000000593C: D3D8400E 1800018E
	v_accvgpr_read_b32 v15, a143                               // 000000005944: D3D8400F 1800018F
	v_cvt_pk_bf16_f32 v16, v8, v9                              // 00000000594C: D2680010 00021308
	v_cvt_pk_bf16_f32 v17, v10, v11                            // 000000005954: D2680011 0002170A
	v_cvt_pk_bf16_f32 v18, v12, v13                            // 00000000595C: D2680012 00021B0C
	v_cvt_pk_bf16_f32 v19, v14, v15                            // 000000005964: D2680013 00021F0E
	s_nop 1                                                    // 00000000596C: BF800001
	v_permlane16_swap_b32_e32 v16, v18                         // 000000005970: 7E20B312
	s_nop 1                                                    // 000000005974: BF800001
	v_permlane16_swap_b32_e32 v17, v19                         // 000000005978: 7E22B313
	s_nop 1                                                    // 00000000597C: BF800001
	buffer_store_dwordx4 v[16:19], v232, s[4:7], 0 offen       // 000000005980: E07C1000 800110E8
	v_add_u32_e32 v232, s62, v232                              // 000000005988: 69D1D03E
	s_branch label_0DB2                                        // 00000000598C: BF82024E

0000000000005990 <label_0B64>:
	s_mul_i32 s62, s36, 16                                     // 000000005990: 923E9024
	s_cmp_lt_i32 s60, s44                                      // 000000005994: BF042C3C
	s_cbranch_scc0 label_0DB2                                  // 000000005998: BF84024B
	s_addk_i32 s60, 0x20                                       // 00000000599C: B73C0020
	v_add_u32_e32 v232, 0, v228                                // 0000000059A0: 69D1C880
	v_accvgpr_read_b32 v8, a0                                  // 0000000059A4: D3D84008 18000100
	v_accvgpr_read_b32 v9, a1                                  // 0000000059AC: D3D84009 18000101
	v_accvgpr_read_b32 v10, a2                                 // 0000000059B4: D3D8400A 18000102
	v_accvgpr_read_b32 v11, a3                                 // 0000000059BC: D3D8400B 18000103
	v_accvgpr_read_b32 v12, a8                                 // 0000000059C4: D3D8400C 18000108
	v_accvgpr_read_b32 v13, a9                                 // 0000000059CC: D3D8400D 18000109
	v_accvgpr_read_b32 v14, a10                                // 0000000059D4: D3D8400E 1800010A
	v_accvgpr_read_b32 v15, a11                                // 0000000059DC: D3D8400F 1800010B
	v_cvt_pk_bf16_f32 v16, v8, v9                              // 0000000059E4: D2680010 00021308
	v_cvt_pk_bf16_f32 v17, v10, v11                            // 0000000059EC: D2680011 0002170A
	v_cvt_pk_bf16_f32 v18, v12, v13                            // 0000000059F4: D2680012 00021B0C
	v_cvt_pk_bf16_f32 v19, v14, v15                            // 0000000059FC: D2680013 00021F0E
	s_nop 1                                                    // 000000005A04: BF800001
	v_permlane16_swap_b32_e32 v16, v18                         // 000000005A08: 7E20B312
	s_nop 1                                                    // 000000005A0C: BF800001
	v_permlane16_swap_b32_e32 v17, v19                         // 000000005A10: 7E22B313
	s_nop 1                                                    // 000000005A14: BF800001
	buffer_store_dwordx4 v[16:19], v232, s[4:7], 0 offen       // 000000005A18: E07C1000 800110E8
	v_add_u32_e32 v232, s62, v232                              // 000000005A20: 69D1D03E
	v_accvgpr_read_b32 v8, a4                                  // 000000005A24: D3D84008 18000104
	v_accvgpr_read_b32 v9, a5                                  // 000000005A2C: D3D84009 18000105
	v_accvgpr_read_b32 v10, a6                                 // 000000005A34: D3D8400A 18000106
	v_accvgpr_read_b32 v11, a7                                 // 000000005A3C: D3D8400B 18000107
	v_accvgpr_read_b32 v12, a12                                // 000000005A44: D3D8400C 1800010C
	v_accvgpr_read_b32 v13, a13                                // 000000005A4C: D3D8400D 1800010D
	v_accvgpr_read_b32 v14, a14                                // 000000005A54: D3D8400E 1800010E
	v_accvgpr_read_b32 v15, a15                                // 000000005A5C: D3D8400F 1800010F
	v_cvt_pk_bf16_f32 v16, v8, v9                              // 000000005A64: D2680010 00021308
	v_cvt_pk_bf16_f32 v17, v10, v11                            // 000000005A6C: D2680011 0002170A
	v_cvt_pk_bf16_f32 v18, v12, v13                            // 000000005A74: D2680012 00021B0C
	v_cvt_pk_bf16_f32 v19, v14, v15                            // 000000005A7C: D2680013 00021F0E
	s_nop 1                                                    // 000000005A84: BF800001
	v_permlane16_swap_b32_e32 v16, v18                         // 000000005A88: 7E20B312
	s_nop 1                                                    // 000000005A8C: BF800001
	v_permlane16_swap_b32_e32 v17, v19                         // 000000005A90: 7E22B313
	s_nop 1                                                    // 000000005A94: BF800001
	buffer_store_dwordx4 v[16:19], v232, s[4:7], 0 offen       // 000000005A98: E07C1000 800110E8
	v_add_u32_e32 v232, s62, v232                              // 000000005AA0: 69D1D03E
	v_accvgpr_read_b32 v8, a48                                 // 000000005AA4: D3D84008 18000130
	v_accvgpr_read_b32 v9, a49                                 // 000000005AAC: D3D84009 18000131
	v_accvgpr_read_b32 v10, a50                                // 000000005AB4: D3D8400A 18000132
	v_accvgpr_read_b32 v11, a51                                // 000000005ABC: D3D8400B 18000133
	v_accvgpr_read_b32 v12, a56                                // 000000005AC4: D3D8400C 18000138
	v_accvgpr_read_b32 v13, a57                                // 000000005ACC: D3D8400D 18000139
	v_accvgpr_read_b32 v14, a58                                // 000000005AD4: D3D8400E 1800013A
	v_accvgpr_read_b32 v15, a59                                // 000000005ADC: D3D8400F 1800013B
	v_cvt_pk_bf16_f32 v16, v8, v9                              // 000000005AE4: D2680010 00021308
	v_cvt_pk_bf16_f32 v17, v10, v11                            // 000000005AEC: D2680011 0002170A
	v_cvt_pk_bf16_f32 v18, v12, v13                            // 000000005AF4: D2680012 00021B0C
	v_cvt_pk_bf16_f32 v19, v14, v15                            // 000000005AFC: D2680013 00021F0E
	s_nop 1                                                    // 000000005B04: BF800001
	v_permlane16_swap_b32_e32 v16, v18                         // 000000005B08: 7E20B312
	s_nop 1                                                    // 000000005B0C: BF800001
	v_permlane16_swap_b32_e32 v17, v19                         // 000000005B10: 7E22B313
	s_nop 1                                                    // 000000005B14: BF800001
	buffer_store_dwordx4 v[16:19], v232, s[4:7], 0 offen       // 000000005B18: E07C1000 800110E8
	v_add_u32_e32 v232, s62, v232                              // 000000005B20: 69D1D03E
	v_accvgpr_read_b32 v8, a52                                 // 000000005B24: D3D84008 18000134
	v_accvgpr_read_b32 v9, a53                                 // 000000005B2C: D3D84009 18000135
	v_accvgpr_read_b32 v10, a54                                // 000000005B34: D3D8400A 18000136
	v_accvgpr_read_b32 v11, a55                                // 000000005B3C: D3D8400B 18000137
	v_accvgpr_read_b32 v12, a60                                // 000000005B44: D3D8400C 1800013C
	v_accvgpr_read_b32 v13, a61                                // 000000005B4C: D3D8400D 1800013D
	v_accvgpr_read_b32 v14, a62                                // 000000005B54: D3D8400E 1800013E
	v_accvgpr_read_b32 v15, a63                                // 000000005B5C: D3D8400F 1800013F
	v_cvt_pk_bf16_f32 v16, v8, v9                              // 000000005B64: D2680010 00021308
	v_cvt_pk_bf16_f32 v17, v10, v11                            // 000000005B6C: D2680011 0002170A
	v_cvt_pk_bf16_f32 v18, v12, v13                            // 000000005B74: D2680012 00021B0C
	v_cvt_pk_bf16_f32 v19, v14, v15                            // 000000005B7C: D2680013 00021F0E
	s_nop 1                                                    // 000000005B84: BF800001
	v_permlane16_swap_b32_e32 v16, v18                         // 000000005B88: 7E20B312
	s_nop 1                                                    // 000000005B8C: BF800001
	v_permlane16_swap_b32_e32 v17, v19                         // 000000005B90: 7E22B313
	s_nop 1                                                    // 000000005B94: BF800001
	buffer_store_dwordx4 v[16:19], v232, s[4:7], 0 offen       // 000000005B98: E07C1000 800110E8
	v_add_u32_e32 v232, s62, v232                              // 000000005BA0: 69D1D03E
	v_accvgpr_read_b32 v8, a96                                 // 000000005BA4: D3D84008 18000160
	v_accvgpr_read_b32 v9, a97                                 // 000000005BAC: D3D84009 18000161
	v_accvgpr_read_b32 v10, a98                                // 000000005BB4: D3D8400A 18000162
	v_accvgpr_read_b32 v11, a99                                // 000000005BBC: D3D8400B 18000163
	v_accvgpr_read_b32 v12, a104                               // 000000005BC4: D3D8400C 18000168
	v_accvgpr_read_b32 v13, a105                               // 000000005BCC: D3D8400D 18000169
	v_accvgpr_read_b32 v14, a106                               // 000000005BD4: D3D8400E 1800016A
	v_accvgpr_read_b32 v15, a107                               // 000000005BDC: D3D8400F 1800016B
	v_cvt_pk_bf16_f32 v16, v8, v9                              // 000000005BE4: D2680010 00021308
	v_cvt_pk_bf16_f32 v17, v10, v11                            // 000000005BEC: D2680011 0002170A
	v_cvt_pk_bf16_f32 v18, v12, v13                            // 000000005BF4: D2680012 00021B0C
	v_cvt_pk_bf16_f32 v19, v14, v15                            // 000000005BFC: D2680013 00021F0E
	s_nop 1                                                    // 000000005C04: BF800001
	v_permlane16_swap_b32_e32 v16, v18                         // 000000005C08: 7E20B312
	s_nop 1                                                    // 000000005C0C: BF800001
	v_permlane16_swap_b32_e32 v17, v19                         // 000000005C10: 7E22B313
	s_nop 1                                                    // 000000005C14: BF800001
	buffer_store_dwordx4 v[16:19], v232, s[4:7], 0 offen       // 000000005C18: E07C1000 800110E8
	v_add_u32_e32 v232, s62, v232                              // 000000005C20: 69D1D03E
	v_accvgpr_read_b32 v8, a100                                // 000000005C24: D3D84008 18000164
	v_accvgpr_read_b32 v9, a101                                // 000000005C2C: D3D84009 18000165
	v_accvgpr_read_b32 v10, a102                               // 000000005C34: D3D8400A 18000166
	v_accvgpr_read_b32 v11, a103                               // 000000005C3C: D3D8400B 18000167
	v_accvgpr_read_b32 v12, a108                               // 000000005C44: D3D8400C 1800016C
	v_accvgpr_read_b32 v13, a109                               // 000000005C4C: D3D8400D 1800016D
	v_accvgpr_read_b32 v14, a110                               // 000000005C54: D3D8400E 1800016E
	v_accvgpr_read_b32 v15, a111                               // 000000005C5C: D3D8400F 1800016F
	v_cvt_pk_bf16_f32 v16, v8, v9                              // 000000005C64: D2680010 00021308
	v_cvt_pk_bf16_f32 v17, v10, v11                            // 000000005C6C: D2680011 0002170A
	v_cvt_pk_bf16_f32 v18, v12, v13                            // 000000005C74: D2680012 00021B0C
	v_cvt_pk_bf16_f32 v19, v14, v15                            // 000000005C7C: D2680013 00021F0E
	s_nop 1                                                    // 000000005C84: BF800001
	v_permlane16_swap_b32_e32 v16, v18                         // 000000005C88: 7E20B312
	s_nop 1                                                    // 000000005C8C: BF800001
	v_permlane16_swap_b32_e32 v17, v19                         // 000000005C90: 7E22B313
	s_nop 1                                                    // 000000005C94: BF800001
	buffer_store_dwordx4 v[16:19], v232, s[4:7], 0 offen       // 000000005C98: E07C1000 800110E8
	v_add_u32_e32 v232, s62, v232                              // 000000005CA0: 69D1D03E
	s_cmp_lt_i32 s60, s44                                      // 000000005CA4: BF042C3C
	s_cbranch_scc0 label_0DB2                                  // 000000005CA8: BF840187
	s_addk_i32 s60, 0x20                                       // 000000005CAC: B73C0020
	v_add_u32_e32 v232, 64, v228                               // 000000005CB0: 69D1C8C0
	v_accvgpr_read_b32 v8, a16                                 // 000000005CB4: D3D84008 18000110
	v_accvgpr_read_b32 v9, a17                                 // 000000005CBC: D3D84009 18000111
	v_accvgpr_read_b32 v10, a18                                // 000000005CC4: D3D8400A 18000112
	v_accvgpr_read_b32 v11, a19                                // 000000005CCC: D3D8400B 18000113
	v_accvgpr_read_b32 v12, a24                                // 000000005CD4: D3D8400C 18000118
	v_accvgpr_read_b32 v13, a25                                // 000000005CDC: D3D8400D 18000119
	v_accvgpr_read_b32 v14, a26                                // 000000005CE4: D3D8400E 1800011A
	v_accvgpr_read_b32 v15, a27                                // 000000005CEC: D3D8400F 1800011B
	v_cvt_pk_bf16_f32 v16, v8, v9                              // 000000005CF4: D2680010 00021308
	v_cvt_pk_bf16_f32 v17, v10, v11                            // 000000005CFC: D2680011 0002170A
	v_cvt_pk_bf16_f32 v18, v12, v13                            // 000000005D04: D2680012 00021B0C
	v_cvt_pk_bf16_f32 v19, v14, v15                            // 000000005D0C: D2680013 00021F0E
	s_nop 1                                                    // 000000005D14: BF800001
	v_permlane16_swap_b32_e32 v16, v18                         // 000000005D18: 7E20B312
	s_nop 1                                                    // 000000005D1C: BF800001
	v_permlane16_swap_b32_e32 v17, v19                         // 000000005D20: 7E22B313
	s_nop 1                                                    // 000000005D24: BF800001
	buffer_store_dwordx4 v[16:19], v232, s[4:7], 0 offen       // 000000005D28: E07C1000 800110E8
	v_add_u32_e32 v232, s62, v232                              // 000000005D30: 69D1D03E
	v_accvgpr_read_b32 v8, a20                                 // 000000005D34: D3D84008 18000114
	v_accvgpr_read_b32 v9, a21                                 // 000000005D3C: D3D84009 18000115
	v_accvgpr_read_b32 v10, a22                                // 000000005D44: D3D8400A 18000116
	v_accvgpr_read_b32 v11, a23                                // 000000005D4C: D3D8400B 18000117
	v_accvgpr_read_b32 v12, a28                                // 000000005D54: D3D8400C 1800011C
	v_accvgpr_read_b32 v13, a29                                // 000000005D5C: D3D8400D 1800011D
	v_accvgpr_read_b32 v14, a30                                // 000000005D64: D3D8400E 1800011E
	v_accvgpr_read_b32 v15, a31                                // 000000005D6C: D3D8400F 1800011F
	v_cvt_pk_bf16_f32 v16, v8, v9                              // 000000005D74: D2680010 00021308
	v_cvt_pk_bf16_f32 v17, v10, v11                            // 000000005D7C: D2680011 0002170A
	v_cvt_pk_bf16_f32 v18, v12, v13                            // 000000005D84: D2680012 00021B0C
	v_cvt_pk_bf16_f32 v19, v14, v15                            // 000000005D8C: D2680013 00021F0E
	s_nop 1                                                    // 000000005D94: BF800001
	v_permlane16_swap_b32_e32 v16, v18                         // 000000005D98: 7E20B312
	s_nop 1                                                    // 000000005D9C: BF800001
	v_permlane16_swap_b32_e32 v17, v19                         // 000000005DA0: 7E22B313
	s_nop 1                                                    // 000000005DA4: BF800001
	buffer_store_dwordx4 v[16:19], v232, s[4:7], 0 offen       // 000000005DA8: E07C1000 800110E8
	v_add_u32_e32 v232, s62, v232                              // 000000005DB0: 69D1D03E
	v_accvgpr_read_b32 v8, a64                                 // 000000005DB4: D3D84008 18000140
	v_accvgpr_read_b32 v9, a65                                 // 000000005DBC: D3D84009 18000141
	v_accvgpr_read_b32 v10, a66                                // 000000005DC4: D3D8400A 18000142
	v_accvgpr_read_b32 v11, a67                                // 000000005DCC: D3D8400B 18000143
	v_accvgpr_read_b32 v12, a72                                // 000000005DD4: D3D8400C 18000148
	v_accvgpr_read_b32 v13, a73                                // 000000005DDC: D3D8400D 18000149
	v_accvgpr_read_b32 v14, a74                                // 000000005DE4: D3D8400E 1800014A
	v_accvgpr_read_b32 v15, a75                                // 000000005DEC: D3D8400F 1800014B
	v_cvt_pk_bf16_f32 v16, v8, v9                              // 000000005DF4: D2680010 00021308
	v_cvt_pk_bf16_f32 v17, v10, v11                            // 000000005DFC: D2680011 0002170A
	v_cvt_pk_bf16_f32 v18, v12, v13                            // 000000005E04: D2680012 00021B0C
	v_cvt_pk_bf16_f32 v19, v14, v15                            // 000000005E0C: D2680013 00021F0E
	s_nop 1                                                    // 000000005E14: BF800001
	v_permlane16_swap_b32_e32 v16, v18                         // 000000005E18: 7E20B312
	s_nop 1                                                    // 000000005E1C: BF800001
	v_permlane16_swap_b32_e32 v17, v19                         // 000000005E20: 7E22B313
	s_nop 1                                                    // 000000005E24: BF800001
	buffer_store_dwordx4 v[16:19], v232, s[4:7], 0 offen       // 000000005E28: E07C1000 800110E8
	v_add_u32_e32 v232, s62, v232                              // 000000005E30: 69D1D03E
	v_accvgpr_read_b32 v8, a68                                 // 000000005E34: D3D84008 18000144
	v_accvgpr_read_b32 v9, a69                                 // 000000005E3C: D3D84009 18000145
	v_accvgpr_read_b32 v10, a70                                // 000000005E44: D3D8400A 18000146
	v_accvgpr_read_b32 v11, a71                                // 000000005E4C: D3D8400B 18000147
	v_accvgpr_read_b32 v12, a76                                // 000000005E54: D3D8400C 1800014C
	v_accvgpr_read_b32 v13, a77                                // 000000005E5C: D3D8400D 1800014D
	v_accvgpr_read_b32 v14, a78                                // 000000005E64: D3D8400E 1800014E
	v_accvgpr_read_b32 v15, a79                                // 000000005E6C: D3D8400F 1800014F
	v_cvt_pk_bf16_f32 v16, v8, v9                              // 000000005E74: D2680010 00021308
	v_cvt_pk_bf16_f32 v17, v10, v11                            // 000000005E7C: D2680011 0002170A
	v_cvt_pk_bf16_f32 v18, v12, v13                            // 000000005E84: D2680012 00021B0C
	v_cvt_pk_bf16_f32 v19, v14, v15                            // 000000005E8C: D2680013 00021F0E
	s_nop 1                                                    // 000000005E94: BF800001
	v_permlane16_swap_b32_e32 v16, v18                         // 000000005E98: 7E20B312
	s_nop 1                                                    // 000000005E9C: BF800001
	v_permlane16_swap_b32_e32 v17, v19                         // 000000005EA0: 7E22B313
	s_nop 1                                                    // 000000005EA4: BF800001
	buffer_store_dwordx4 v[16:19], v232, s[4:7], 0 offen       // 000000005EA8: E07C1000 800110E8
	v_add_u32_e32 v232, s62, v232                              // 000000005EB0: 69D1D03E
	v_accvgpr_read_b32 v8, a112                                // 000000005EB4: D3D84008 18000170
	v_accvgpr_read_b32 v9, a113                                // 000000005EBC: D3D84009 18000171
	v_accvgpr_read_b32 v10, a114                               // 000000005EC4: D3D8400A 18000172
	v_accvgpr_read_b32 v11, a115                               // 000000005ECC: D3D8400B 18000173
	v_accvgpr_read_b32 v12, a120                               // 000000005ED4: D3D8400C 18000178
	v_accvgpr_read_b32 v13, a121                               // 000000005EDC: D3D8400D 18000179
	v_accvgpr_read_b32 v14, a122                               // 000000005EE4: D3D8400E 1800017A
	v_accvgpr_read_b32 v15, a123                               // 000000005EEC: D3D8400F 1800017B
	v_cvt_pk_bf16_f32 v16, v8, v9                              // 000000005EF4: D2680010 00021308
	v_cvt_pk_bf16_f32 v17, v10, v11                            // 000000005EFC: D2680011 0002170A
	v_cvt_pk_bf16_f32 v18, v12, v13                            // 000000005F04: D2680012 00021B0C
	v_cvt_pk_bf16_f32 v19, v14, v15                            // 000000005F0C: D2680013 00021F0E
	s_nop 1                                                    // 000000005F14: BF800001
	v_permlane16_swap_b32_e32 v16, v18                         // 000000005F18: 7E20B312
	s_nop 1                                                    // 000000005F1C: BF800001
	v_permlane16_swap_b32_e32 v17, v19                         // 000000005F20: 7E22B313
	s_nop 1                                                    // 000000005F24: BF800001
	buffer_store_dwordx4 v[16:19], v232, s[4:7], 0 offen       // 000000005F28: E07C1000 800110E8
	v_add_u32_e32 v232, s62, v232                              // 000000005F30: 69D1D03E
	v_accvgpr_read_b32 v8, a116                                // 000000005F34: D3D84008 18000174
	v_accvgpr_read_b32 v9, a117                                // 000000005F3C: D3D84009 18000175
	v_accvgpr_read_b32 v10, a118                               // 000000005F44: D3D8400A 18000176
	v_accvgpr_read_b32 v11, a119                               // 000000005F4C: D3D8400B 18000177
	v_accvgpr_read_b32 v12, a124                               // 000000005F54: D3D8400C 1800017C
	v_accvgpr_read_b32 v13, a125                               // 000000005F5C: D3D8400D 1800017D
	v_accvgpr_read_b32 v14, a126                               // 000000005F64: D3D8400E 1800017E
	v_accvgpr_read_b32 v15, a127                               // 000000005F6C: D3D8400F 1800017F
	v_cvt_pk_bf16_f32 v16, v8, v9                              // 000000005F74: D2680010 00021308
	v_cvt_pk_bf16_f32 v17, v10, v11                            // 000000005F7C: D2680011 0002170A
	v_cvt_pk_bf16_f32 v18, v12, v13                            // 000000005F84: D2680012 00021B0C
	v_cvt_pk_bf16_f32 v19, v14, v15                            // 000000005F8C: D2680013 00021F0E
	s_nop 1                                                    // 000000005F94: BF800001
	v_permlane16_swap_b32_e32 v16, v18                         // 000000005F98: 7E20B312
	s_nop 1                                                    // 000000005F9C: BF800001
	v_permlane16_swap_b32_e32 v17, v19                         // 000000005FA0: 7E22B313
	s_nop 1                                                    // 000000005FA4: BF800001
	buffer_store_dwordx4 v[16:19], v232, s[4:7], 0 offen       // 000000005FA8: E07C1000 800110E8
	v_add_u32_e32 v232, s62, v232                              // 000000005FB0: 69D1D03E
	s_cmp_lt_i32 s60, s44                                      // 000000005FB4: BF042C3C
	s_cbranch_scc0 label_0DB2                                  // 000000005FB8: BF8400C3
	s_addk_i32 s60, 0x20                                       // 000000005FBC: B73C0020
	v_add_u32_e32 v232, 0x80, v228                             // 000000005FC0: 69D1C8FF 00000080
	v_accvgpr_read_b32 v8, a32                                 // 000000005FC8: D3D84008 18000120
	v_accvgpr_read_b32 v9, a33                                 // 000000005FD0: D3D84009 18000121
	v_accvgpr_read_b32 v10, a34                                // 000000005FD8: D3D8400A 18000122
	v_accvgpr_read_b32 v11, a35                                // 000000005FE0: D3D8400B 18000123
	v_accvgpr_read_b32 v12, a40                                // 000000005FE8: D3D8400C 18000128
	v_accvgpr_read_b32 v13, a41                                // 000000005FF0: D3D8400D 18000129
	v_accvgpr_read_b32 v14, a42                                // 000000005FF8: D3D8400E 1800012A
	v_accvgpr_read_b32 v15, a43                                // 000000006000: D3D8400F 1800012B
	v_cvt_pk_bf16_f32 v16, v8, v9                              // 000000006008: D2680010 00021308
	v_cvt_pk_bf16_f32 v17, v10, v11                            // 000000006010: D2680011 0002170A
	v_cvt_pk_bf16_f32 v18, v12, v13                            // 000000006018: D2680012 00021B0C
	v_cvt_pk_bf16_f32 v19, v14, v15                            // 000000006020: D2680013 00021F0E
	s_nop 1                                                    // 000000006028: BF800001
	v_permlane16_swap_b32_e32 v16, v18                         // 00000000602C: 7E20B312
	s_nop 1                                                    // 000000006030: BF800001
	v_permlane16_swap_b32_e32 v17, v19                         // 000000006034: 7E22B313
	s_nop 1                                                    // 000000006038: BF800001
	buffer_store_dwordx4 v[16:19], v232, s[4:7], 0 offen       // 00000000603C: E07C1000 800110E8
	v_add_u32_e32 v232, s62, v232                              // 000000006044: 69D1D03E
	v_accvgpr_read_b32 v8, a36                                 // 000000006048: D3D84008 18000124
	v_accvgpr_read_b32 v9, a37                                 // 000000006050: D3D84009 18000125
	v_accvgpr_read_b32 v10, a38                                // 000000006058: D3D8400A 18000126
	v_accvgpr_read_b32 v11, a39                                // 000000006060: D3D8400B 18000127
	v_accvgpr_read_b32 v12, a44                                // 000000006068: D3D8400C 1800012C
	v_accvgpr_read_b32 v13, a45                                // 000000006070: D3D8400D 1800012D
	v_accvgpr_read_b32 v14, a46                                // 000000006078: D3D8400E 1800012E
	v_accvgpr_read_b32 v15, a47                                // 000000006080: D3D8400F 1800012F
	v_cvt_pk_bf16_f32 v16, v8, v9                              // 000000006088: D2680010 00021308
	v_cvt_pk_bf16_f32 v17, v10, v11                            // 000000006090: D2680011 0002170A
	v_cvt_pk_bf16_f32 v18, v12, v13                            // 000000006098: D2680012 00021B0C
	v_cvt_pk_bf16_f32 v19, v14, v15                            // 0000000060A0: D2680013 00021F0E
	s_nop 1                                                    // 0000000060A8: BF800001
	v_permlane16_swap_b32_e32 v16, v18                         // 0000000060AC: 7E20B312
	s_nop 1                                                    // 0000000060B0: BF800001
	v_permlane16_swap_b32_e32 v17, v19                         // 0000000060B4: 7E22B313
	s_nop 1                                                    // 0000000060B8: BF800001
	buffer_store_dwordx4 v[16:19], v232, s[4:7], 0 offen       // 0000000060BC: E07C1000 800110E8
	v_add_u32_e32 v232, s62, v232                              // 0000000060C4: 69D1D03E
	v_accvgpr_read_b32 v8, a80                                 // 0000000060C8: D3D84008 18000150
	v_accvgpr_read_b32 v9, a81                                 // 0000000060D0: D3D84009 18000151
	v_accvgpr_read_b32 v10, a82                                // 0000000060D8: D3D8400A 18000152
	v_accvgpr_read_b32 v11, a83                                // 0000000060E0: D3D8400B 18000153
	v_accvgpr_read_b32 v12, a88                                // 0000000060E8: D3D8400C 18000158
	v_accvgpr_read_b32 v13, a89                                // 0000000060F0: D3D8400D 18000159
	v_accvgpr_read_b32 v14, a90                                // 0000000060F8: D3D8400E 1800015A
	v_accvgpr_read_b32 v15, a91                                // 000000006100: D3D8400F 1800015B
	v_cvt_pk_bf16_f32 v16, v8, v9                              // 000000006108: D2680010 00021308
	v_cvt_pk_bf16_f32 v17, v10, v11                            // 000000006110: D2680011 0002170A
	v_cvt_pk_bf16_f32 v18, v12, v13                            // 000000006118: D2680012 00021B0C
	v_cvt_pk_bf16_f32 v19, v14, v15                            // 000000006120: D2680013 00021F0E
	s_nop 1                                                    // 000000006128: BF800001
	v_permlane16_swap_b32_e32 v16, v18                         // 00000000612C: 7E20B312
	s_nop 1                                                    // 000000006130: BF800001
	v_permlane16_swap_b32_e32 v17, v19                         // 000000006134: 7E22B313
	s_nop 1                                                    // 000000006138: BF800001
	buffer_store_dwordx4 v[16:19], v232, s[4:7], 0 offen       // 00000000613C: E07C1000 800110E8
	v_add_u32_e32 v232, s62, v232                              // 000000006144: 69D1D03E
	v_accvgpr_read_b32 v8, a84                                 // 000000006148: D3D84008 18000154
	v_accvgpr_read_b32 v9, a85                                 // 000000006150: D3D84009 18000155
	v_accvgpr_read_b32 v10, a86                                // 000000006158: D3D8400A 18000156
	v_accvgpr_read_b32 v11, a87                                // 000000006160: D3D8400B 18000157
	v_accvgpr_read_b32 v12, a92                                // 000000006168: D3D8400C 1800015C
	v_accvgpr_read_b32 v13, a93                                // 000000006170: D3D8400D 1800015D
	v_accvgpr_read_b32 v14, a94                                // 000000006178: D3D8400E 1800015E
	v_accvgpr_read_b32 v15, a95                                // 000000006180: D3D8400F 1800015F
	v_cvt_pk_bf16_f32 v16, v8, v9                              // 000000006188: D2680010 00021308
	v_cvt_pk_bf16_f32 v17, v10, v11                            // 000000006190: D2680011 0002170A
	v_cvt_pk_bf16_f32 v18, v12, v13                            // 000000006198: D2680012 00021B0C
	v_cvt_pk_bf16_f32 v19, v14, v15                            // 0000000061A0: D2680013 00021F0E
	s_nop 1                                                    // 0000000061A8: BF800001
	v_permlane16_swap_b32_e32 v16, v18                         // 0000000061AC: 7E20B312
	s_nop 1                                                    // 0000000061B0: BF800001
	v_permlane16_swap_b32_e32 v17, v19                         // 0000000061B4: 7E22B313
	s_nop 1                                                    // 0000000061B8: BF800001
	buffer_store_dwordx4 v[16:19], v232, s[4:7], 0 offen       // 0000000061BC: E07C1000 800110E8
	v_add_u32_e32 v232, s62, v232                              // 0000000061C4: 69D1D03E
	v_accvgpr_read_b32 v8, a128                                // 0000000061C8: D3D84008 18000180
	v_accvgpr_read_b32 v9, a129                                // 0000000061D0: D3D84009 18000181
	v_accvgpr_read_b32 v10, a130                               // 0000000061D8: D3D8400A 18000182
	v_accvgpr_read_b32 v11, a131                               // 0000000061E0: D3D8400B 18000183
	v_accvgpr_read_b32 v12, a136                               // 0000000061E8: D3D8400C 18000188
	v_accvgpr_read_b32 v13, a137                               // 0000000061F0: D3D8400D 18000189
	v_accvgpr_read_b32 v14, a138                               // 0000000061F8: D3D8400E 1800018A
	v_accvgpr_read_b32 v15, a139                               // 000000006200: D3D8400F 1800018B
	v_cvt_pk_bf16_f32 v16, v8, v9                              // 000000006208: D2680010 00021308
	v_cvt_pk_bf16_f32 v17, v10, v11                            // 000000006210: D2680011 0002170A
	v_cvt_pk_bf16_f32 v18, v12, v13                            // 000000006218: D2680012 00021B0C
	v_cvt_pk_bf16_f32 v19, v14, v15                            // 000000006220: D2680013 00021F0E
	s_nop 1                                                    // 000000006228: BF800001
	v_permlane16_swap_b32_e32 v16, v18                         // 00000000622C: 7E20B312
	s_nop 1                                                    // 000000006230: BF800001
	v_permlane16_swap_b32_e32 v17, v19                         // 000000006234: 7E22B313
	s_nop 1                                                    // 000000006238: BF800001
	buffer_store_dwordx4 v[16:19], v232, s[4:7], 0 offen       // 00000000623C: E07C1000 800110E8
	v_add_u32_e32 v232, s62, v232                              // 000000006244: 69D1D03E
	v_accvgpr_read_b32 v8, a132                                // 000000006248: D3D84008 18000184
	v_accvgpr_read_b32 v9, a133                                // 000000006250: D3D84009 18000185
	v_accvgpr_read_b32 v10, a134                               // 000000006258: D3D8400A 18000186
	v_accvgpr_read_b32 v11, a135                               // 000000006260: D3D8400B 18000187
	v_accvgpr_read_b32 v12, a140                               // 000000006268: D3D8400C 1800018C
	v_accvgpr_read_b32 v13, a141                               // 000000006270: D3D8400D 1800018D
	v_accvgpr_read_b32 v14, a142                               // 000000006278: D3D8400E 1800018E
	v_accvgpr_read_b32 v15, a143                               // 000000006280: D3D8400F 1800018F
	v_cvt_pk_bf16_f32 v16, v8, v9                              // 000000006288: D2680010 00021308
	v_cvt_pk_bf16_f32 v17, v10, v11                            // 000000006290: D2680011 0002170A
	v_cvt_pk_bf16_f32 v18, v12, v13                            // 000000006298: D2680012 00021B0C
	v_cvt_pk_bf16_f32 v19, v14, v15                            // 0000000062A0: D2680013 00021F0E
	s_nop 1                                                    // 0000000062A8: BF800001
	v_permlane16_swap_b32_e32 v16, v18                         // 0000000062AC: 7E20B312
	s_nop 1                                                    // 0000000062B0: BF800001
	v_permlane16_swap_b32_e32 v17, v19                         // 0000000062B4: 7E22B313
	s_nop 1                                                    // 0000000062B8: BF800001
	buffer_store_dwordx4 v[16:19], v232, s[4:7], 0 offen       // 0000000062BC: E07C1000 800110E8
	v_add_u32_e32 v232, s62, v232                              // 0000000062C4: 69D1D03E

00000000000062c8 <label_0DB2>:
	s_waitcnt vmcnt(0) expcnt(0) lgkmcnt(0)                    // 0000000062C8: BF8C0000
	s_endpgm                                                   // 0000000062CC: BF810000
